;; amdgpu-corpus repo=ROCm/rocFFT kind=compiled arch=gfx1100 opt=O3
	.text
	.amdgcn_target "amdgcn-amd-amdhsa--gfx1100"
	.amdhsa_code_object_version 6
	.protected	bluestein_single_back_len3240_dim1_sp_op_CI_CI ; -- Begin function bluestein_single_back_len3240_dim1_sp_op_CI_CI
	.globl	bluestein_single_back_len3240_dim1_sp_op_CI_CI
	.p2align	8
	.type	bluestein_single_back_len3240_dim1_sp_op_CI_CI,@function
bluestein_single_back_len3240_dim1_sp_op_CI_CI: ; @bluestein_single_back_len3240_dim1_sp_op_CI_CI
; %bb.0:
	s_load_b128 s[16:19], s[0:1], 0x28
	v_mul_u32_u24_e32 v1, 0x25f, v0
	s_mov_b32 s2, exec_lo
	v_mov_b32_e32 v5, 0
	s_delay_alu instid0(VALU_DEP_2) | instskip(NEXT) | instid1(VALU_DEP_1)
	v_lshrrev_b32_e32 v1, 16, v1
	v_add_nc_u32_e32 v4, s15, v1
	s_waitcnt lgkmcnt(0)
	s_delay_alu instid0(VALU_DEP_1)
	v_cmpx_gt_u64_e64 s[16:17], v[4:5]
	s_cbranch_execz .LBB0_2
; %bb.1:
	s_clause 0x1
	s_load_b128 s[4:7], s[0:1], 0x18
	s_load_b128 s[8:11], s[0:1], 0x0
	v_mul_lo_u16 v1, 0x6c, v1
	s_load_b64 s[0:1], s[0:1], 0x38
	s_delay_alu instid0(VALU_DEP_1)
	v_sub_nc_u16 v60, v0, v1
	s_waitcnt lgkmcnt(0)
	s_load_b128 s[12:15], s[4:5], 0x0
	s_waitcnt lgkmcnt(0)
	v_mad_u64_u32 v[2:3], null, s14, v4, 0
	v_and_b32_e32 v161, 0xffff, v60
	s_mul_hi_u32 s4, s12, 0x21c0
	s_mul_i32 s3, s12, 0x21c0
	s_mul_i32 s5, s12, 0xffffbfe0
	s_delay_alu instid0(VALU_DEP_2) | instskip(SKIP_4) | instid1(VALU_DEP_1)
	v_dual_mov_b32 v0, v3 :: v_dual_mov_b32 v7, v4
	v_lshlrev_b32_e32 v178, 3, v161
	v_mad_u64_u32 v[4:5], null, s12, v161, 0
	scratch_store_b64 off, v[7:8], off      ; 8-byte Folded Spill
	v_add_co_u32 v176, s2, s8, v178
	v_add_co_ci_u32_e64 v177, null, s9, 0, s2
	v_dual_mov_b32 v1, v5 :: v_dual_add_nc_u32 v58, 0x2400, v178
	global_load_b64 v[33:34], v178, s[8:9]
	s_mul_i32 s2, s13, 0x21c0
	v_add_nc_u32_e32 v62, 0x5c00, v178
	v_mad_u64_u32 v[5:6], null, s15, v7, v[0:1]
	v_add_co_u32 v0, vcc_lo, 0x4000, v176
	v_mad_u64_u32 v[6:7], null, s13, v161, v[1:2]
	v_add_co_ci_u32_e32 v1, vcc_lo, 0, v177, vcc_lo
	v_add_co_u32 v10, vcc_lo, 0x2000, v176
	v_add_co_ci_u32_e32 v11, vcc_lo, 0, v177, vcc_lo
	s_add_i32 s2, s4, s2
	s_mul_hi_u32 s4, s12, 0xffffbfe0
	s_mulk_i32 s13, 0xbfe0
	global_load_b64 v[36:37], v[10:11], off offset:448
	v_mov_b32_e32 v3, v5
	v_mov_b32_e32 v5, v6
	s_sub_i32 s4, s4, s12
	global_load_b64 v[31:32], v[0:1], off offset:896
	s_add_i32 s4, s4, s13
	v_lshlrev_b64 v[2:3], 3, v[2:3]
	v_lshlrev_b64 v[4:5], 3, v[4:5]
	v_dual_mov_b32 v96, v62 :: v_dual_add_nc_u32 v225, 0xc00, v178
	s_delay_alu instid0(VALU_DEP_3) | instskip(NEXT) | instid1(VALU_DEP_4)
	v_add_co_u32 v2, vcc_lo, s18, v2
	v_add_co_ci_u32_e32 v3, vcc_lo, s19, v3, vcc_lo
	s_delay_alu instid0(VALU_DEP_2) | instskip(NEXT) | instid1(VALU_DEP_2)
	v_add_co_u32 v4, vcc_lo, v2, v4
	v_add_co_ci_u32_e32 v5, vcc_lo, v3, v5, vcc_lo
	global_load_b64 v[2:3], v[4:5], off
	v_add_co_u32 v4, vcc_lo, v4, s3
	v_add_co_ci_u32_e32 v5, vcc_lo, s2, v5, vcc_lo
	s_delay_alu instid0(VALU_DEP_2) | instskip(NEXT) | instid1(VALU_DEP_2)
	v_add_co_u32 v6, vcc_lo, v4, s3
	v_add_co_ci_u32_e32 v7, vcc_lo, s2, v5, vcc_lo
	global_load_b64 v[4:5], v[4:5], off
	v_add_co_u32 v12, vcc_lo, v6, s5
	global_load_b64 v[8:9], v[6:7], off
	v_add_co_ci_u32_e32 v13, vcc_lo, s4, v7, vcc_lo
	global_load_b64 v[38:39], v178, s[8:9] offset:864
	global_load_b64 v[6:7], v[12:13], off
	v_add_co_u32 v12, vcc_lo, v12, s3
	v_add_co_ci_u32_e32 v13, vcc_lo, s2, v13, vcc_lo
	global_load_b64 v[52:53], v[10:11], off offset:1312
	v_add_co_u32 v14, vcc_lo, v12, s3
	v_add_co_ci_u32_e32 v15, vcc_lo, s2, v13, vcc_lo
	global_load_b64 v[12:13], v[12:13], off
	v_add_co_u32 v16, vcc_lo, v14, s5
	v_add_co_ci_u32_e32 v17, vcc_lo, s4, v15, vcc_lo
	s_delay_alu instid0(VALU_DEP_2) | instskip(NEXT) | instid1(VALU_DEP_2)
	v_add_co_u32 v18, vcc_lo, v16, s3
	v_add_co_ci_u32_e32 v19, vcc_lo, s2, v17, vcc_lo
	global_load_b64 v[44:45], v[10:11], off offset:2176
	global_load_b64 v[20:21], v[18:19], off
	global_load_b64 v[54:55], v[0:1], off offset:1760
	global_load_b64 v[14:15], v[14:15], off
	v_add_co_u32 v18, vcc_lo, v18, s3
	v_add_co_ci_u32_e32 v19, vcc_lo, s2, v19, vcc_lo
	global_load_b64 v[46:47], v[0:1], off offset:2624
	global_load_b64 v[22:23], v[18:19], off
	v_add_co_u32 v18, vcc_lo, v18, s5
	v_add_co_ci_u32_e32 v19, vcc_lo, s4, v19, vcc_lo
	s_clause 0x4
	global_load_b64 v[56:57], v178, s[8:9] offset:1728
	global_load_b64 v[50:51], v178, s[8:9] offset:2592
	global_load_b64 v[48:49], v[10:11], off offset:3040
	global_load_b64 v[42:43], v[10:11], off offset:3904
	;; [unrolled: 1-line block ×3, first 2 shown]
	global_load_b64 v[10:11], v[16:17], off
	global_load_b64 v[16:17], v[18:19], off
	v_add_co_u32 v18, vcc_lo, v18, s3
	v_add_co_ci_u32_e32 v19, vcc_lo, s2, v19, vcc_lo
	s_delay_alu instid0(VALU_DEP_2) | instskip(NEXT) | instid1(VALU_DEP_2)
	v_add_co_u32 v24, vcc_lo, v18, s3
	v_add_co_ci_u32_e32 v25, vcc_lo, s2, v19, vcc_lo
	global_load_b64 v[18:19], v[18:19], off
	v_add_co_u32 v28, vcc_lo, v24, s5
	v_add_co_ci_u32_e32 v29, vcc_lo, s4, v25, vcc_lo
	global_load_b64 v[24:25], v[24:25], off
	s_waitcnt vmcnt(23)
	s_clause 0x1
	scratch_store_b64 off, v[36:37], off offset:224
	scratch_store_b64 off, v[33:34], off offset:240
	s_waitcnt vmcnt(21)
	v_mul_f32_e32 v27, v2, v34
	v_dual_mul_f32 v26, v3, v34 :: v_dual_mov_b32 v35, v32
	v_mov_b32_e32 v34, v31
	v_add_co_u32 v32, vcc_lo, v28, s3
	s_delay_alu instid0(VALU_DEP_4) | instskip(NEXT) | instid1(VALU_DEP_4)
	v_fma_f32 v27, v3, v33, -v27
	v_dual_fmac_f32 v26, v2, v33 :: v_dual_add_nc_u32 v59, 0x4400, v178
	v_add_co_ci_u32_e32 v33, vcc_lo, s2, v29, vcc_lo
	s_waitcnt vmcnt(20)
	v_mul_f32_e32 v3, v5, v37
	v_mul_f32_e32 v30, v4, v37
	s_waitcnt vmcnt(19)
	v_mul_f32_e32 v2, v8, v35
	scratch_store_b64 off, v[34:35], off offset:192 ; 8-byte Folded Spill
	v_fmac_f32_e32 v3, v4, v36
	v_fma_f32 v4, v5, v36, -v30
	v_mul_f32_e32 v30, v9, v35
	v_fma_f32 v31, v9, v34, -v2
	s_waitcnt vmcnt(17)
	v_mul_f32_e32 v2, v7, v39
	scratch_store_b64 off, v[38:39], off offset:232 ; 8-byte Folded Spill
	v_fmac_f32_e32 v30, v8, v34
	global_load_b64 v[8:9], v[32:33], off
	v_mul_f32_e32 v34, v6, v39
	ds_store_b64 v178, v[3:4] offset:8640
	v_add_co_u32 v4, vcc_lo, v32, s3
	v_add_co_ci_u32_e32 v5, vcc_lo, s2, v33, vcc_lo
	v_fma_f32 v3, v7, v38, -v34
	global_load_b64 v[32:33], v[0:1], off offset:3488
	s_waitcnt vmcnt(17)
	v_dual_mul_f32 v1, v12, v53 :: v_dual_fmac_f32 v2, v6, v38
	v_mul_f32_e32 v0, v13, v53
	v_add_co_u32 v6, vcc_lo, 0x5000, v176
	s_delay_alu instid0(VALU_DEP_3)
	v_fma_f32 v1, v13, v52, -v1
	v_add_co_ci_u32_e32 v7, vcc_lo, 0, v177, vcc_lo
	s_waitcnt vmcnt(13)
	v_mul_f32_e32 v13, v14, v55
	ds_store_b64 v178, v[30:31] offset:17280
	ds_store_2addr_b64 v178, v[26:27], v[2:3] offset1:108
	v_mul_f32_e32 v3, v20, v45
	v_mul_f32_e32 v2, v21, v45
	v_fmac_f32_e32 v0, v12, v52
	v_mul_f32_e32 v12, v15, v55
	s_clause 0x1
	scratch_store_b64 off, v[52:53], off offset:208
	scratch_store_b64 off, v[54:55], off offset:200
	v_fma_f32 v3, v21, v44, -v3
	v_fmac_f32_e32 v2, v20, v44
	scratch_store_b64 off, v[44:45], off offset:152 ; 8-byte Folded Spill
	global_load_b64 v[30:31], v[6:7], off offset:256
	global_load_b64 v[20:21], v[4:5], off
	v_fmac_f32_e32 v12, v14, v54
	v_fma_f32 v13, v15, v54, -v13
	global_load_b64 v[34:35], v178, s[8:9] offset:3456
	global_load_b64 v[14:15], v[28:29], off
	s_waitcnt vmcnt(15)
	v_mul_f32_e32 v26, v22, v47
	ds_store_2addr_b64 v58, v[0:1], v[2:3] offset0:36 offset1:144
	v_mul_f32_e32 v0, v23, v47
	v_add_co_u32 v2, vcc_lo, 0x1000, v176
	v_add_co_ci_u32_e32 v3, vcc_lo, 0, v177, vcc_lo
	v_add_co_u32 v4, vcc_lo, v4, s5
	v_fma_f32 v1, v23, v46, -v26
	v_fmac_f32_e32 v0, v22, v46
	v_add_co_ci_u32_e32 v5, vcc_lo, s4, v5, vcc_lo
	global_load_b64 v[28:29], v[2:3], off offset:224
	s_waitcnt vmcnt(15)
	scratch_store_b64 off, v[56:57], off offset:216 ; 8-byte Folded Spill
	s_waitcnt vmcnt(14)
	scratch_store_b64 off, v[50:51], off offset:184 ; 8-byte Folded Spill
	ds_store_2addr_b64 v59, v[12:13], v[0:1] offset0:92 offset1:200
	global_load_b64 v[0:1], v[4:5], off
	s_waitcnt vmcnt(11)
	v_mul_f32_e32 v13, v10, v57
	v_mul_f32_e32 v12, v11, v57
	scratch_store_b64 off, v[42:43], off offset:96 ; 8-byte Folded Spill
	v_fma_f32 v13, v11, v56, -v13
	s_waitcnt vmcnt(10)
	v_dual_mul_f32 v11, v16, v51 :: v_dual_fmac_f32 v12, v10, v56
	v_mul_f32_e32 v10, v17, v51
	s_delay_alu instid0(VALU_DEP_2) | instskip(SKIP_1) | instid1(VALU_DEP_2)
	v_fma_f32 v11, v17, v50, -v11
	s_waitcnt vmcnt(9)
	v_dual_mul_f32 v17, v18, v49 :: v_dual_fmac_f32 v10, v16, v50
	v_mul_f32_e32 v16, v19, v49
	s_delay_alu instid0(VALU_DEP_2) | instskip(SKIP_1) | instid1(VALU_DEP_2)
	v_fma_f32 v17, v19, v48, -v17
	s_waitcnt vmcnt(7)
	v_dual_fmac_f32 v16, v18, v48 :: v_dual_mul_f32 v19, v8, v43
	v_mul_f32_e32 v18, v9, v43
	s_delay_alu instid0(VALU_DEP_2) | instskip(SKIP_1) | instid1(VALU_DEP_3)
	v_fma_f32 v19, v9, v42, -v19
	v_add_nc_u32_e32 v9, 0x400, v178
	v_fmac_f32_e32 v18, v8, v42
	v_add_nc_u32_e32 v8, 0x2800, v178
	ds_store_2addr_b64 v9, v[12:13], v[10:11] offset0:88 offset1:196
	s_waitcnt vmcnt(6)
	v_dual_mov_b32 v10, v32 :: v_dual_mov_b32 v11, v33
	v_mov_b32_e32 v224, v9
	ds_store_2addr_b64 v8, v[16:17], v[18:19] offset0:124 offset1:232
	v_mov_b32_e32 v36, v8
	s_clause 0x1
	scratch_store_b64 off, v[46:47], off offset:144
	scratch_store_b64 off, v[10:11], off offset:168
	v_mul_f32_e32 v9, v24, v11
	v_mul_f32_e32 v8, v25, v11
	scratch_store_b64 off, v[48:49], off offset:176 ; 8-byte Folded Spill
	s_clause 0x2
	global_load_b64 v[32:33], v[6:7], off offset:1120
	global_load_b64 v[22:23], v[6:7], off offset:1984
	;; [unrolled: 1-line block ×3, first 2 shown]
	v_fma_f32 v9, v25, v10, -v9
	v_fmac_f32_e32 v8, v24, v10
	s_waitcnt vmcnt(8)
	scratch_store_b64 off, v[30:31], off offset:104 ; 8-byte Folded Spill
	s_waitcnt vmcnt(7)
	v_mul_f32_e32 v11, v20, v31
	v_mul_f32_e32 v10, v21, v31
	s_waitcnt vmcnt(6)
	scratch_store_b64 off, v[34:35], off offset:160 ; 8-byte Folded Spill
	s_waitcnt vmcnt(5)
	v_mul_f32_e32 v13, v14, v35
	v_mul_f32_e32 v12, v15, v35
	v_fma_f32 v11, v21, v30, -v11
	v_fmac_f32_e32 v10, v20, v30
	s_delay_alu instid0(VALU_DEP_4)
	v_fma_f32 v13, v15, v34, -v13
	v_add_nc_u32_e32 v15, 0x4c00, v178
	v_fmac_f32_e32 v12, v14, v34
	ds_store_2addr_b64 v15, v[8:9], v[10:11] offset0:52 offset1:160
	s_clause 0x2
	global_load_b64 v[30:31], v[2:3], off offset:1088
	global_load_b64 v[26:27], v[2:3], off offset:1952
	;; [unrolled: 1-line block ×3, first 2 shown]
	s_waitcnt vmcnt(7)
	scratch_store_b64 off, v[28:29], off offset:112 ; 8-byte Folded Spill
	s_waitcnt vmcnt(6)
	v_mul_f32_e32 v8, v0, v29
	s_delay_alu instid0(VALU_DEP_1) | instskip(SKIP_1) | instid1(VALU_DEP_1)
	v_fma_f32 v9, v1, v28, -v8
	v_mul_f32_e32 v8, v1, v29
	v_fmac_f32_e32 v8, v0, v28
	v_add_co_u32 v0, vcc_lo, v4, s3
	v_add_co_ci_u32_e32 v1, vcc_lo, s2, v5, vcc_lo
	v_add_co_u32 v4, vcc_lo, 0x3000, v176
	v_add_co_ci_u32_e32 v5, vcc_lo, 0, v177, vcc_lo
	ds_store_2addr_b64 v225, v[12:13], v[8:9] offset0:48 offset1:156
	v_add_co_u32 v8, vcc_lo, v0, s3
	v_add_co_ci_u32_e32 v9, vcc_lo, s2, v1, vcc_lo
	global_load_b64 v[0:1], v[0:1], off
	s_clause 0x1
	global_load_b64 v[10:11], v[4:5], off offset:672
	global_load_b64 v[28:29], v[4:5], off offset:1536
	s_waitcnt vmcnt(1)
	scratch_store_b64 off, v[10:11], off offset:120 ; 8-byte Folded Spill
	s_waitcnt vmcnt(0)
	scratch_store_b64 off, v[28:29], off offset:64 ; 8-byte Folded Spill
	s_clause 0x1
	global_load_b64 v[24:25], v[4:5], off offset:2400
	global_load_b64 v[15:16], v[4:5], off offset:3264
	v_mul_f32_e32 v4, v0, v11
	s_clause 0x5
	scratch_store_b64 off, v[22:23], off offset:40
	scratch_store_b64 off, v[17:18], off offset:56
	;; [unrolled: 1-line block ×6, first 2 shown]
	v_fma_f32 v5, v1, v10, -v4
	v_mul_f32_e32 v4, v1, v11
	scratch_store_b64 off, v[40:41], off offset:32 ; 8-byte Folded Spill
	v_fmac_f32_e32 v4, v0, v10
	v_add_co_u32 v0, vcc_lo, v8, s5
	v_add_co_ci_u32_e32 v1, vcc_lo, s4, v9, vcc_lo
	global_load_b64 v[8:9], v[8:9], off
	v_add_co_u32 v10, vcc_lo, v0, s3
	v_add_co_ci_u32_e32 v11, vcc_lo, s2, v1, vcc_lo
	global_load_b64 v[0:1], v[0:1], off
	global_load_b64 v[12:13], v[10:11], off
	s_waitcnt vmcnt(4)
	scratch_store_b64 off, v[24:25], off offset:80 ; 8-byte Folded Spill
	s_waitcnt vmcnt(0)
	v_mul_f32_e32 v14, v12, v29
	s_delay_alu instid0(VALU_DEP_1) | instskip(SKIP_1) | instid1(VALU_DEP_1)
	v_fma_f32 v14, v13, v28, -v14
	v_mul_f32_e32 v13, v13, v29
	v_dual_fmac_f32 v13, v12, v28 :: v_dual_add_nc_u32 v12, 0x3000, v178
	ds_store_2addr_b64 v12, v[4:5], v[13:14] offset0:84 offset1:192
	v_add_co_u32 v4, vcc_lo, v10, s3
	v_add_co_ci_u32_e32 v5, vcc_lo, s2, v11, vcc_lo
	v_mul_f32_e32 v10, v8, v33
	global_load_b64 v[11:12], v[4:5], off
	v_add_co_u32 v4, vcc_lo, v4, s5
	v_fma_f32 v10, v9, v32, -v10
	v_mul_f32_e32 v9, v9, v33
	v_add_co_ci_u32_e32 v5, vcc_lo, s4, v5, vcc_lo
	s_waitcnt vmcnt(0)
	s_delay_alu instid0(VALU_DEP_2) | instskip(NEXT) | instid1(VALU_DEP_1)
	v_dual_fmac_f32 v9, v8, v32 :: v_dual_mul_f32 v8, v11, v23
	v_fma_f32 v13, v12, v22, -v8
	v_mul_f32_e32 v12, v12, v23
	v_add_nc_u32_e32 v8, 0x5000, v178
	s_delay_alu instid0(VALU_DEP_2) | instskip(NEXT) | instid1(VALU_DEP_2)
	v_fmac_f32_e32 v12, v11, v22
	v_mov_b32_e32 v22, v8
	ds_store_2addr_b64 v8, v[9:10], v[12:13] offset0:140 offset1:248
	v_mul_f32_e32 v8, v0, v31
	s_delay_alu instid0(VALU_DEP_1) | instskip(SKIP_1) | instid1(VALU_DEP_1)
	v_fma_f32 v9, v1, v30, -v8
	v_mul_f32_e32 v8, v1, v31
	v_fmac_f32_e32 v8, v0, v30
	global_load_b64 v[0:1], v[4:5], off
	s_waitcnt vmcnt(0)
	v_mul_f32_e32 v10, v0, v27
	s_delay_alu instid0(VALU_DEP_1) | instskip(SKIP_1) | instid1(VALU_DEP_1)
	v_fma_f32 v11, v1, v26, -v10
	v_mul_f32_e32 v10, v1, v27
	v_fmac_f32_e32 v10, v0, v26
	v_add_nc_u32_e32 v0, 0x1000, v178
	ds_store_2addr_b64 v0, v[8:9], v[10:11] offset0:136 offset1:244
	v_mov_b32_e32 v23, v0
	v_add_co_u32 v0, vcc_lo, v4, s3
	v_add_co_ci_u32_e32 v1, vcc_lo, s2, v5, vcc_lo
	s_delay_alu instid0(VALU_DEP_3) | instskip(NEXT) | instid1(VALU_DEP_3)
	v_mov_b32_e32 v98, v23
	v_add_co_u32 v4, vcc_lo, v0, s3
	s_delay_alu instid0(VALU_DEP_3) | instskip(SKIP_3) | instid1(VALU_DEP_1)
	v_add_co_ci_u32_e32 v5, vcc_lo, s2, v1, vcc_lo
	global_load_b64 v[0:1], v[0:1], off
	s_waitcnt vmcnt(0)
	v_mul_f32_e32 v8, v0, v25
	v_fma_f32 v9, v1, v24, -v8
	v_dual_mul_f32 v8, v1, v25 :: v_dual_add_nc_u32 v25, 0x5400, v178
	s_delay_alu instid0(VALU_DEP_1)
	v_fmac_f32_e32 v8, v0, v24
	v_add_co_u32 v0, vcc_lo, v4, s5
	v_add_co_ci_u32_e32 v1, vcc_lo, s4, v5, vcc_lo
	global_load_b64 v[4:5], v[4:5], off
	v_add_co_u32 v10, vcc_lo, v0, s3
	v_add_co_ci_u32_e32 v11, vcc_lo, s2, v1, vcc_lo
	global_load_b64 v[0:1], v[0:1], off
	v_mov_b32_e32 v164, v25
	global_load_b64 v[12:13], v[10:11], off
	s_waitcnt vmcnt(0)
	v_mul_f32_e32 v14, v12, v16
	s_delay_alu instid0(VALU_DEP_1) | instskip(SKIP_1) | instid1(VALU_DEP_1)
	v_fma_f32 v14, v13, v15, -v14
	v_mul_f32_e32 v13, v13, v16
	v_dual_fmac_f32 v13, v12, v15 :: v_dual_add_nc_u32 v12, 0x3800, v178
	ds_store_2addr_b64 v12, v[8:9], v[13:14] offset0:44 offset1:152
	v_add_co_u32 v8, vcc_lo, v10, s3
	v_mul_f32_e32 v10, v4, v18
	v_add_co_ci_u32_e32 v9, vcc_lo, s2, v11, vcc_lo
	global_load_b64 v[12:13], v[6:7], off offset:3712
	scratch_store_b64 off, v[15:16], off offset:8 ; 8-byte Folded Spill
	v_fma_f32 v11, v5, v17, -v10
	v_mul_f32_e32 v10, v5, v18
	s_delay_alu instid0(VALU_DEP_1) | instskip(SKIP_2) | instid1(VALU_DEP_1)
	v_fmac_f32_e32 v10, v4, v17
	global_load_b64 v[4:5], v[8:9], off
	v_add_nc_u32_e32 v17, 0x4800, v178
	v_mov_b32_e32 v167, v17
	s_waitcnt vmcnt(1)
	scratch_store_b64 off, v[12:13], off offset:16 ; 8-byte Folded Spill
	s_waitcnt vmcnt(0)
	v_mul_f32_e32 v6, v4, v13
	s_delay_alu instid0(VALU_DEP_1) | instskip(SKIP_2) | instid1(VALU_DEP_2)
	v_fma_f32 v6, v5, v12, -v6
	v_mul_f32_e32 v5, v5, v13
	v_add_nc_u32_e32 v13, 0x4000, v178
	v_dual_fmac_f32 v5, v4, v12 :: v_dual_add_nc_u32 v4, 0x5800, v178
	s_delay_alu instid0(VALU_DEP_2) | instskip(SKIP_4) | instid1(VALU_DEP_3)
	v_mov_b32_e32 v89, v13
	ds_store_2addr_b64 v4, v[10:11], v[5:6] offset0:100 offset1:208
	v_mul_f32_e32 v6, v0, v20
	v_add_co_u32 v4, vcc_lo, v8, s5
	v_add_co_ci_u32_e32 v5, vcc_lo, s4, v9, vcc_lo
	v_fma_f32 v7, v1, v19, -v6
	v_mul_f32_e32 v6, v1, v20
	global_load_b64 v[8:9], v[2:3], off offset:3680
	v_fmac_f32_e32 v6, v0, v19
	global_load_b64 v[0:1], v[4:5], off
	s_waitcnt vmcnt(1)
	scratch_store_b64 off, v[8:9], off offset:48 ; 8-byte Folded Spill
	s_waitcnt vmcnt(0)
	v_mul_f32_e32 v2, v0, v9
	s_delay_alu instid0(VALU_DEP_1) | instskip(SKIP_1) | instid1(VALU_DEP_1)
	v_fma_f32 v2, v1, v8, -v2
	v_mul_f32_e32 v1, v1, v9
	v_dual_fmac_f32 v1, v0, v8 :: v_dual_add_nc_u32 v0, 0x1800, v178
	v_add_nc_u32_e32 v8, 0x2000, v178
	ds_store_2addr_b64 v0, v[6:7], v[1:2] offset0:96 offset1:204
	v_mov_b32_e32 v26, v0
	v_add_co_u32 v0, vcc_lo, v4, s3
	v_add_co_ci_u32_e32 v1, vcc_lo, s2, v5, vcc_lo
	v_mov_b32_e32 v90, v8
	s_delay_alu instid0(VALU_DEP_3) | instskip(NEXT) | instid1(VALU_DEP_3)
	v_add_co_u32 v2, vcc_lo, v0, s3
	v_add_co_ci_u32_e32 v3, vcc_lo, s2, v1, vcc_lo
	global_load_b64 v[0:1], v[0:1], off
	v_add_co_u32 v226, vcc_lo, 0x6000, v176
	v_add_co_ci_u32_e32 v227, vcc_lo, 0, v177, vcc_lo
	v_cmp_gt_u16_e32 vcc_lo, 0x5a, v60
	s_waitcnt vmcnt(0)
	v_mul_f32_e32 v4, v0, v41
	s_delay_alu instid0(VALU_DEP_1) | instskip(SKIP_1) | instid1(VALU_DEP_1)
	v_fma_f32 v5, v1, v40, -v4
	v_mul_f32_e32 v4, v1, v41
	v_fmac_f32_e32 v4, v0, v40
	global_load_b64 v[0:1], v[2:3], off
	global_load_b64 v[6:7], v[226:227], off offset:480
	s_waitcnt vmcnt(0)
	v_mul_f32_e32 v2, v0, v7
	scratch_store_b64 off, v[6:7], off offset:24 ; 8-byte Folded Spill
	v_fma_f32 v2, v1, v6, -v2
	v_mul_f32_e32 v1, v1, v7
	s_delay_alu instid0(VALU_DEP_1)
	v_fmac_f32_e32 v1, v0, v6
	ds_store_b64 v178, v[4:5] offset:16416
	ds_store_b64 v178, v[1:2] offset:25056
	s_load_b128 s[4:7], s[6:7], 0x0
	s_waitcnt lgkmcnt(0)
	s_waitcnt_vscnt null, 0x0
	s_barrier
	buffer_gl0_inv
	ds_load_2addr_b64 v[0:3], v178 offset1:108
	ds_load_2addr_b64 v[4:7], v8 offset0:56 offset1:164
	ds_load_2addr_b64 v[8:11], v13 offset0:112 offset1:220
	s_mul_hi_u32 s3, s4, 0x21c0
	s_waitcnt lgkmcnt(1)
	v_add_f32_e32 v12, v0, v4
	s_waitcnt lgkmcnt(0)
	v_dual_sub_f32 v47, v4, v8 :: v_dual_add_f32 v46, v5, v9
	v_dual_add_f32 v44, v4, v8 :: v_dual_sub_f32 v45, v5, v9
	v_add_f32_e32 v13, v1, v5
	v_add_f32_e32 v5, v3, v7
	;; [unrolled: 1-line block ×3, first 2 shown]
	v_fma_f32 v1, -0.5, v46, v1
	v_dual_add_f32 v4, v2, v6 :: v_dual_sub_f32 v49, v7, v11
	v_dual_sub_f32 v51, v6, v10 :: v_dual_add_f32 v28, v12, v8
	s_delay_alu instid0(VALU_DEP_4) | instskip(SKIP_1) | instid1(VALU_DEP_4)
	v_fmac_f32_e32 v3, -0.5, v50
	v_dual_add_f32 v48, v6, v10 :: v_dual_add_f32 v29, v13, v9
	v_dual_add_f32 v30, v4, v10 :: v_dual_add_f32 v31, v5, v11
	ds_load_2addr_b64 v[4:7], v224 offset0:88 offset1:196
	ds_load_2addr_b64 v[8:11], v36 offset0:16 offset1:124
	;; [unrolled: 1-line block ×3, first 2 shown]
	s_waitcnt lgkmcnt(1)
	v_add_f32_e32 v17, v5, v9
	s_waitcnt lgkmcnt(0)
	v_sub_f32_e32 v55, v8, v12
	v_dual_add_f32 v16, v4, v8 :: v_dual_add_f32 v59, v11, v15
	v_dual_add_f32 v52, v8, v12 :: v_dual_sub_f32 v53, v9, v13
	v_dual_add_f32 v54, v9, v13 :: v_dual_add_f32 v9, v7, v11
	s_delay_alu instid0(VALU_DEP_3) | instskip(NEXT) | instid1(VALU_DEP_4)
	v_dual_sub_f32 v61, v10, v14 :: v_dual_add_f32 v32, v16, v12
	v_dual_fmac_f32 v7, -0.5, v59 :: v_dual_add_nc_u32 v16, 0x2c00, v178
	v_add_f32_e32 v8, v6, v10
	v_dual_add_f32 v57, v10, v14 :: v_dual_sub_f32 v58, v11, v15
	v_add_f32_e32 v33, v17, v13
	s_delay_alu instid0(VALU_DEP_3)
	v_dual_add_f32 v35, v9, v15 :: v_dual_add_f32 v34, v8, v14
	ds_load_2addr_b64 v[8:11], v225 offset0:48 offset1:156
	ds_load_2addr_b64 v[12:15], v16 offset0:104 offset1:212
	v_mov_b32_e32 v91, v16
	ds_load_2addr_b64 v[16:19], v22 offset0:32 offset1:140
	v_mov_b32_e32 v168, v36
	v_mov_b32_e32 v92, v22
	v_fma_f32 v6, -0.5, v57, v6
	v_mov_b32_e32 v169, v91
	s_waitcnt lgkmcnt(0)
	v_dual_add_f32 v21, v9, v13 :: v_dual_add_f32 v70, v15, v19
	v_sub_f32_e32 v65, v13, v17
	v_dual_add_f32 v66, v13, v17 :: v_dual_add_f32 v13, v11, v15
	v_sub_f32_e32 v71, v14, v18
	s_delay_alu instid0(VALU_DEP_4) | instskip(SKIP_3) | instid1(VALU_DEP_4)
	v_dual_fmac_f32 v11, -0.5, v70 :: v_dual_add_f32 v20, v8, v12
	v_add_f32_e32 v64, v12, v16
	v_dual_sub_f32 v67, v12, v16 :: v_dual_add_f32 v12, v10, v14
	v_add_f32_e32 v68, v14, v18
	v_add_f32_e32 v36, v20, v16
	v_dual_sub_f32 v69, v15, v19 :: v_dual_add_nc_u32 v20, 0x3400, v178
	s_delay_alu instid0(VALU_DEP_4)
	v_dual_add_f32 v37, v21, v17 :: v_dual_add_f32 v38, v12, v18
	v_add_f32_e32 v39, v13, v19
	ds_load_2addr_b64 v[12:15], v23 offset0:136 offset1:244
	ds_load_2addr_b64 v[16:19], v20 offset0:64 offset1:172
	v_mov_b32_e32 v165, v20
	ds_load_2addr_b64 v[20:23], v25 offset0:120 offset1:228
	v_fma_f32 v10, -0.5, v68, v10
	s_waitcnt lgkmcnt(1)
	v_dual_add_f32 v24, v12, v16 :: v_dual_add_f32 v25, v13, v17
	s_waitcnt lgkmcnt(0)
	v_dual_add_f32 v72, v16, v20 :: v_dual_sub_f32 v73, v17, v21
	v_dual_add_f32 v74, v17, v21 :: v_dual_sub_f32 v75, v16, v20
	v_dual_add_f32 v16, v14, v18 :: v_dual_add_f32 v17, v15, v19
	v_add_f32_e32 v40, v24, v20
	v_add_nc_u32_e32 v24, 0x3c00, v178
	v_dual_add_f32 v76, v18, v22 :: v_dual_sub_f32 v77, v19, v23
	v_dual_add_f32 v78, v19, v23 :: v_dual_sub_f32 v79, v18, v22
	v_dual_add_f32 v41, v25, v21 :: v_dual_add_f32 v42, v16, v22
	v_add_f32_e32 v43, v17, v23
	ds_load_2addr_b64 v[16:19], v26 offset0:96 offset1:204
	ds_load_2addr_b64 v[20:23], v24 offset0:24 offset1:132
	v_dual_mov_b32 v166, v26 :: v_dual_mov_b32 v97, v24
	ds_load_2addr_b64 v[24:27], v62 offset0:80 offset1:188
	v_fmac_f32_e32 v15, -0.5, v78
	v_fma_f32 v14, -0.5, v76, v14
	v_mov_b32_e32 v195, v97
	s_waitcnt lgkmcnt(1)
	v_dual_add_f32 v63, v18, v22 :: v_dual_add_f32 v86, v19, v23
	v_add_f32_e32 v56, v16, v20
	s_waitcnt lgkmcnt(0)
	v_add_f32_e32 v84, v22, v26
	v_sub_f32_e32 v88, v22, v26
	v_add_f32_e32 v22, v63, v26
	v_mul_lo_u16 v26, v60, 3
	v_dual_add_f32 v62, v17, v21 :: v_dual_sub_f32 v85, v23, v27
	v_add_f32_e32 v87, v23, v27
	v_add_f32_e32 v23, v86, v27
	v_fma_f32 v0, -0.5, v44, v0
	v_and_b32_e32 v26, 0xffff, v26
	v_dual_add_f32 v80, v20, v24 :: v_dual_sub_f32 v81, v21, v25
	v_dual_add_f32 v82, v21, v25 :: v_dual_sub_f32 v83, v20, v24
	v_dual_add_f32 v20, v56, v24 :: v_dual_add_f32 v21, v62, v25
	v_fmamk_f32 v24, v45, 0x3f5db3d7, v0
	v_dual_fmamk_f32 v25, v47, 0xbf5db3d7, v1 :: v_dual_lshlrev_b32 v26, 3, v26
	v_add_co_u32 v56, null, 0x6c, v161
	v_fmac_f32_e32 v0, 0xbf5db3d7, v45
	v_fmac_f32_e32 v1, 0x3f5db3d7, v47
	scratch_store_b32 off, v26, off offset:260 ; 4-byte Folded Spill
	s_waitcnt_vscnt null, 0x0
	s_barrier
	buffer_gl0_inv
	ds_store_2addr_b64 v26, v[28:29], v[24:25] offset1:1
	ds_store_b64 v26, v[0:1] offset:16
	v_fmamk_f32 v1, v51, 0xbf5db3d7, v3
	v_fma_f32 v2, -0.5, v48, v2
	v_mul_u32_u24_e32 v24, 3, v56
	v_add_co_u32 v63, null, 0xd8, v161
	s_delay_alu instid0(VALU_DEP_3) | instskip(NEXT) | instid1(VALU_DEP_3)
	v_dual_fmac_f32 v3, 0x3f5db3d7, v51 :: v_dual_fmamk_f32 v0, v49, 0x3f5db3d7, v2
	v_lshlrev_b32_e32 v24, 3, v24
	v_fmac_f32_e32 v2, 0xbf5db3d7, v49
	v_add_co_u32 v62, null, 0x144, v161
	v_add_co_u32 v26, null, 0x2f4, v161
	scratch_store_b32 off, v24, off offset:256 ; 4-byte Folded Spill
	ds_store_2addr_b64 v24, v[30:31], v[0:1] offset1:1
	ds_store_b64 v24, v[2:3] offset:16
	v_fma_f32 v0, -0.5, v52, v4
	v_fma_f32 v1, -0.5, v54, v5
	v_mul_u32_u24_e32 v4, 3, v63
	v_add_co_u32 v27, null, 0x360, v161
	s_delay_alu instid0(VALU_DEP_4) | instskip(NEXT) | instid1(VALU_DEP_3)
	v_fmamk_f32 v2, v53, 0x3f5db3d7, v0
	v_dual_fmamk_f32 v3, v55, 0xbf5db3d7, v1 :: v_dual_lshlrev_b32 v4, 3, v4
	v_fmac_f32_e32 v0, 0xbf5db3d7, v53
	v_fmac_f32_e32 v1, 0x3f5db3d7, v55
	v_add_co_u32 v28, null, 0x3cc, v161
	scratch_store_b32 off, v4, off offset:252 ; 4-byte Folded Spill
	ds_store_2addr_b64 v4, v[32:33], v[2:3] offset1:1
	ds_store_b64 v4, v[0:1] offset:16
	v_mul_u32_u24_e32 v2, 3, v62
	v_fmamk_f32 v0, v58, 0x3f5db3d7, v6
	v_fmamk_f32 v1, v61, 0xbf5db3d7, v7
	v_fmac_f32_e32 v7, 0x3f5db3d7, v61
	v_add_co_u32 v61, null, 0x1b0, v161
	v_lshlrev_b32_e32 v2, 3, v2
	v_fmac_f32_e32 v6, 0xbf5db3d7, v58
	v_fma_f32 v18, -0.5, v84, v18
	s_delay_alu instid0(VALU_DEP_4)
	v_mul_u32_u24_e32 v4, 3, v61
	v_fmac_f32_e32 v19, -0.5, v87
	scratch_store_b32 off, v2, off offset:264 ; 4-byte Folded Spill
	ds_store_2addr_b64 v2, v[34:35], v[0:1] offset1:1
	ds_store_b64 v2, v[6:7] offset:16
	v_fma_f32 v0, -0.5, v64, v8
	v_fma_f32 v1, -0.5, v66, v9
	v_lshlrev_b32_e32 v4, 3, v4
	v_and_b32_e32 v57, 0xff, v56
	v_and_b32_e32 v70, 0xffff, v63
	v_fmamk_f32 v2, v65, 0x3f5db3d7, v0
	v_dual_fmamk_f32 v3, v67, 0xbf5db3d7, v1 :: v_dual_fmac_f32 v0, 0xbf5db3d7, v65
	v_fmac_f32_e32 v1, 0x3f5db3d7, v67
	scratch_store_b32 off, v4, off offset:268 ; 4-byte Folded Spill
	ds_store_2addr_b64 v4, v[36:37], v[2:3] offset1:1
	ds_store_b64 v4, v[0:1] offset:16
	v_add_co_u32 v1, null, 0x21c, v161
	v_fmamk_f32 v2, v69, 0x3f5db3d7, v10
	v_dual_fmamk_f32 v3, v71, 0xbf5db3d7, v11 :: v_dual_fmac_f32 v10, 0xbf5db3d7, v69
	s_delay_alu instid0(VALU_DEP_3) | instskip(SKIP_3) | instid1(VALU_DEP_4)
	v_mul_u32_u24_e32 v0, 3, v1
	v_fmac_f32_e32 v11, 0x3f5db3d7, v71
	v_dual_mov_b32 v163, v90 :: v_dual_and_b32 v68, 0xffff, v62
	v_and_b32_e32 v69, 0xffff, v61
	v_lshlrev_b32_e32 v0, 3, v0
	scratch_store_b32 off, v0, off offset:272 ; 4-byte Folded Spill
	ds_store_2addr_b64 v0, v[38:39], v[2:3] offset1:1
	ds_store_b64 v0, v[10:11] offset:16
	v_add_co_u32 v0, null, 0x288, v161
	v_fma_f32 v2, -0.5, v72, v12
	v_fma_f32 v3, -0.5, v74, v13
	s_delay_alu instid0(VALU_DEP_3) | instskip(NEXT) | instid1(VALU_DEP_3)
	v_mul_u32_u24_e32 v6, 3, v0
	v_fmamk_f32 v4, v73, 0x3f5db3d7, v2
	s_delay_alu instid0(VALU_DEP_3) | instskip(NEXT) | instid1(VALU_DEP_3)
	v_dual_fmamk_f32 v5, v75, 0xbf5db3d7, v3 :: v_dual_fmac_f32 v2, 0xbf5db3d7, v73
	v_dual_fmac_f32 v3, 0x3f5db3d7, v75 :: v_dual_lshlrev_b32 v6, 3, v6
	v_mov_b32_e32 v170, v92
	scratch_store_b32 off, v6, off offset:276 ; 4-byte Folded Spill
	ds_store_2addr_b64 v6, v[40:41], v[4:5] offset1:1
	ds_store_b64 v6, v[2:3] offset:16
	v_mul_u32_u24_e32 v4, 3, v26
	v_fmamk_f32 v2, v77, 0x3f5db3d7, v14
	v_dual_fmamk_f32 v3, v79, 0xbf5db3d7, v15 :: v_dual_fmac_f32 v14, 0xbf5db3d7, v77
	s_delay_alu instid0(VALU_DEP_3)
	v_dual_fmac_f32 v15, 0x3f5db3d7, v79 :: v_dual_lshlrev_b32 v4, 3, v4
	v_mul_u32_u24_e32 v6, 3, v27
	v_and_b32_e32 v40, 0xff, v60
	scratch_store_b32 off, v4, off offset:280 ; 4-byte Folded Spill
	ds_store_2addr_b64 v4, v[42:43], v[2:3] offset1:1
	ds_store_b64 v4, v[14:15] offset:16
	v_fma_f32 v2, -0.5, v80, v16
	v_fma_f32 v3, -0.5, v82, v17
	v_lshlrev_b32_e32 v6, 3, v6
	s_delay_alu instid0(VALU_DEP_3) | instskip(NEXT) | instid1(VALU_DEP_3)
	v_fmamk_f32 v4, v81, 0x3f5db3d7, v2
	v_dual_fmamk_f32 v5, v83, 0xbf5db3d7, v3 :: v_dual_fmac_f32 v2, 0xbf5db3d7, v81
	v_fmac_f32_e32 v3, 0x3f5db3d7, v83
	scratch_store_b32 off, v6, off offset:284 ; 4-byte Folded Spill
	ds_store_2addr_b64 v6, v[20:21], v[4:5] offset1:1
	ds_store_b64 v6, v[2:3] offset:16
	v_mul_u32_u24_e32 v4, 3, v28
	v_fmamk_f32 v2, v85, 0x3f5db3d7, v18
	v_dual_fmamk_f32 v3, v88, 0xbf5db3d7, v19 :: v_dual_fmac_f32 v18, 0xbf5db3d7, v85
	v_fmac_f32_e32 v19, 0x3f5db3d7, v88
	s_delay_alu instid0(VALU_DEP_4)
	v_lshlrev_b32_e32 v4, 3, v4
	scratch_store_b32 off, v4, off offset:288 ; 4-byte Folded Spill
	ds_store_2addr_b64 v4, v[22:23], v[2:3] offset1:1
	ds_store_b64 v4, v[18:19] offset:16
	v_mul_lo_u16 v2, 0xab, v40
	s_waitcnt lgkmcnt(0)
	s_waitcnt_vscnt null, 0x0
	s_barrier
	buffer_gl0_inv
	v_lshrrev_b16 v42, 9, v2
	v_mul_lo_u16 v2, 0xab, v57
	s_delay_alu instid0(VALU_DEP_1) | instskip(NEXT) | instid1(VALU_DEP_3)
	v_lshrrev_b16 v41, 9, v2
	v_mul_lo_u16 v2, v42, 3
	s_delay_alu instid0(VALU_DEP_2) | instskip(NEXT) | instid1(VALU_DEP_2)
	v_mul_lo_u16 v3, v41, 3
	v_sub_nc_u16 v2, v60, v2
	s_delay_alu instid0(VALU_DEP_2) | instskip(NEXT) | instid1(VALU_DEP_2)
	v_sub_nc_u16 v3, v56, v3
	v_and_b32_e32 v44, 0xff, v2
	s_delay_alu instid0(VALU_DEP_2) | instskip(NEXT) | instid1(VALU_DEP_2)
	v_and_b32_e32 v43, 0xff, v3
	v_lshlrev_b32_e32 v2, 4, v44
	s_delay_alu instid0(VALU_DEP_2)
	v_lshlrev_b32_e32 v3, 4, v43
	s_clause 0x1
	global_load_b128 v[11:14], v2, s[10:11]
	global_load_b128 v[7:10], v3, s[10:11]
	ds_load_2addr_b64 v[2:5], v90 offset0:56 offset1:164
	s_waitcnt vmcnt(1) lgkmcnt(0)
	v_mul_f32_e32 v6, v3, v12
	v_mul_f32_e32 v30, v2, v12
	scratch_store_b128 off, v[11:14], off offset:308 ; 16-byte Folded Spill
	s_waitcnt vmcnt(0)
	scratch_store_b128 off, v[7:10], off offset:292 ; 16-byte Folded Spill
	v_fma_f32 v29, v2, v11, -v6
	v_mul_f32_e32 v2, v5, v8
	v_mul_f32_e32 v36, v4, v8
	v_fmac_f32_e32 v30, v3, v11
	s_delay_alu instid0(VALU_DEP_3) | instskip(NEXT) | instid1(VALU_DEP_3)
	v_fma_f32 v35, v4, v7, -v2
	v_fmac_f32_e32 v36, v5, v7
	ds_load_2addr_b64 v[2:5], v89 offset0:112 offset1:220
	s_waitcnt lgkmcnt(0)
	v_mul_f32_e32 v6, v3, v14
	v_mul_f32_e32 v38, v2, v14
	;; [unrolled: 1-line block ×3, first 2 shown]
	s_delay_alu instid0(VALU_DEP_3) | instskip(SKIP_1) | instid1(VALU_DEP_4)
	v_fma_f32 v37, v2, v13, -v6
	v_mul_f32_e32 v2, v5, v10
	v_fmac_f32_e32 v38, v3, v13
	s_delay_alu instid0(VALU_DEP_4) | instskip(NEXT) | instid1(VALU_DEP_3)
	v_fmac_f32_e32 v59, v5, v9
	v_fma_f32 v39, v4, v9, -v2
	v_mul_u32_u24_e32 v2, 0xaaab, v70
	s_delay_alu instid0(VALU_DEP_1) | instskip(SKIP_1) | instid1(VALU_DEP_1)
	v_lshrrev_b32_e32 v20, 17, v2
	v_mul_u32_u24_e32 v2, 0xaaab, v68
	v_lshrrev_b32_e32 v6, 17, v2
	s_delay_alu instid0(VALU_DEP_3) | instskip(NEXT) | instid1(VALU_DEP_1)
	v_mul_lo_u16 v2, v20, 3
	v_sub_nc_u16 v23, v63, v2
	s_delay_alu instid0(VALU_DEP_3) | instskip(NEXT) | instid1(VALU_DEP_2)
	v_mul_lo_u16 v2, v6, 3
	v_mad_u16 v20, v20, 9, v23
	s_delay_alu instid0(VALU_DEP_2) | instskip(SKIP_1) | instid1(VALU_DEP_3)
	v_sub_nc_u16 v8, v62, v2
	v_lshlrev_b16 v2, 1, v23
	v_and_b32_e32 v20, 0xffff, v20
	s_delay_alu instid0(VALU_DEP_3) | instskip(NEXT) | instid1(VALU_DEP_3)
	v_lshlrev_b16 v3, 1, v8
	v_and_b32_e32 v2, 0xffff, v2
	v_mad_u16 v6, v6, 9, v8
	s_delay_alu instid0(VALU_DEP_4) | instskip(NEXT) | instid1(VALU_DEP_4)
	v_lshlrev_b32_e32 v20, 3, v20
	v_and_b32_e32 v3, 0xffff, v3
	s_delay_alu instid0(VALU_DEP_4) | instskip(NEXT) | instid1(VALU_DEP_4)
	v_lshlrev_b32_e32 v2, 3, v2
	v_and_b32_e32 v6, 0xffff, v6
	s_delay_alu instid0(VALU_DEP_3)
	v_lshlrev_b32_e32 v3, 3, v3
	global_load_b128 v[16:19], v2, s[10:11]
	v_lshlrev_b32_e32 v6, 3, v6
	global_load_b128 v[12:15], v3, s[10:11]
	ds_load_2addr_b64 v[2:5], v168 offset0:16 offset1:124
	s_waitcnt vmcnt(1) lgkmcnt(0)
	v_mul_f32_e32 v7, v3, v17
	v_mul_f32_e32 v88, v2, v17
	scratch_store_b128 off, v[16:19], off offset:540 ; 16-byte Folded Spill
	s_waitcnt vmcnt(0)
	scratch_store_b128 off, v[12:15], off offset:364 ; 16-byte Folded Spill
	v_fma_f32 v87, v2, v16, -v7
	v_mul_f32_e32 v2, v5, v13
	v_dual_mul_f32 v11, v4, v13 :: v_dual_fmac_f32 v88, v3, v16
	s_delay_alu instid0(VALU_DEP_2) | instskip(NEXT) | instid1(VALU_DEP_2)
	v_fma_f32 v10, v4, v12, -v2
	v_fmac_f32_e32 v11, v5, v12
	ds_load_2addr_b64 v[2:5], v167 offset0:72 offset1:180
	s_waitcnt lgkmcnt(0)
	v_dual_mov_b32 v162, v89 :: v_dual_mul_f32 v7, v3, v19
	v_mul_f32_e32 v90, v2, v19
	s_delay_alu instid0(VALU_DEP_2) | instskip(SKIP_1) | instid1(VALU_DEP_3)
	v_fma_f32 v89, v2, v18, -v7
	v_mul_f32_e32 v2, v5, v15
	v_fmac_f32_e32 v90, v3, v18
	v_mul_f32_e32 v18, v4, v15
	s_delay_alu instid0(VALU_DEP_3) | instskip(SKIP_1) | instid1(VALU_DEP_3)
	v_fma_f32 v17, v4, v14, -v2
	v_and_b32_e32 v2, 0xffff, v1
	v_fmac_f32_e32 v18, v5, v14
	s_delay_alu instid0(VALU_DEP_2) | instskip(NEXT) | instid1(VALU_DEP_1)
	v_mul_u32_u24_e32 v2, 0xaaab, v2
	v_lshrrev_b32_e32 v7, 17, v2
	s_delay_alu instid0(VALU_DEP_1) | instskip(NEXT) | instid1(VALU_DEP_1)
	v_mul_lo_u16 v2, v7, 3
	v_sub_nc_u16 v9, v1, v2
	v_mul_u32_u24_e32 v1, 0xaaab, v69
	s_delay_alu instid0(VALU_DEP_2) | instskip(NEXT) | instid1(VALU_DEP_2)
	v_lshlrev_b16 v2, 1, v9
	v_lshrrev_b32_e32 v14, 17, v1
	s_delay_alu instid0(VALU_DEP_2) | instskip(NEXT) | instid1(VALU_DEP_2)
	v_and_b32_e32 v2, 0xffff, v2
	v_mul_lo_u16 v1, v14, 3
	s_delay_alu instid0(VALU_DEP_2) | instskip(NEXT) | instid1(VALU_DEP_2)
	v_lshlrev_b32_e32 v2, 3, v2
	v_sub_nc_u16 v15, v61, v1
	global_load_b128 v[251:254], v2, s[10:11]
	v_lshlrev_b16 v1, 1, v15
	s_delay_alu instid0(VALU_DEP_1) | instskip(NEXT) | instid1(VALU_DEP_1)
	v_and_b32_e32 v1, 0xffff, v1
	v_lshlrev_b32_e32 v1, 3, v1
	v_mov_b32_e32 v171, v96
	global_load_b128 v[31:34], v1, s[10:11]
	ds_load_2addr_b64 v[1:4], v91 offset0:104 offset1:212
	s_waitcnt vmcnt(1) lgkmcnt(0)
	v_mul_f32_e32 v19, v3, v252
	s_delay_alu instid0(VALU_DEP_1)
	v_fmac_f32_e32 v19, v4, v251
	s_waitcnt vmcnt(0)
	v_mul_f32_e32 v5, v2, v32
	v_mul_f32_e32 v91, v1, v32
	scratch_store_b128 off, v[31:34], off offset:556 ; 16-byte Folded Spill
	v_fma_f32 v25, v1, v31, -v5
	v_mul_f32_e32 v1, v4, v252
	v_fmac_f32_e32 v91, v2, v31
	s_delay_alu instid0(VALU_DEP_2)
	v_fma_f32 v16, v3, v251, -v1
	ds_load_2addr_b64 v[1:4], v92 offset0:32 offset1:140
	s_waitcnt lgkmcnt(0)
	v_mul_f32_e32 v5, v2, v34
	v_mul_f32_e32 v93, v1, v34
	;; [unrolled: 1-line block ×3, first 2 shown]
	s_delay_alu instid0(VALU_DEP_3) | instskip(SKIP_1) | instid1(VALU_DEP_4)
	v_fma_f32 v92, v1, v33, -v5
	v_mul_f32_e32 v1, v4, v254
	v_fmac_f32_e32 v93, v2, v33
	s_delay_alu instid0(VALU_DEP_4) | instskip(NEXT) | instid1(VALU_DEP_3)
	v_fmac_f32_e32 v24, v4, v253
	v_fma_f32 v21, v3, v253, -v1
	v_and_b32_e32 v1, 0xffff, v0
	s_delay_alu instid0(VALU_DEP_1) | instskip(NEXT) | instid1(VALU_DEP_1)
	v_mul_u32_u24_e32 v1, 0xaaab, v1
	v_lshrrev_b32_e32 v12, 17, v1
	s_delay_alu instid0(VALU_DEP_1) | instskip(NEXT) | instid1(VALU_DEP_1)
	v_mul_lo_u16 v1, v12, 3
	v_sub_nc_u16 v13, v0, v1
	v_and_b32_e32 v0, 0xffff, v26
	s_delay_alu instid0(VALU_DEP_1) | instskip(NEXT) | instid1(VALU_DEP_1)
	v_mul_u32_u24_e32 v0, 0xaaab, v0
	v_lshrrev_b32_e32 v55, 17, v0
	s_delay_alu instid0(VALU_DEP_1) | instskip(NEXT) | instid1(VALU_DEP_1)
	v_mul_lo_u16 v0, v55, 3
	v_sub_nc_u16 v58, v26, v0
	v_lshlrev_b16 v0, 1, v13
	s_delay_alu instid0(VALU_DEP_2) | instskip(NEXT) | instid1(VALU_DEP_2)
	v_lshlrev_b16 v1, 1, v58
	v_and_b32_e32 v0, 0xffff, v0
	s_delay_alu instid0(VALU_DEP_2) | instskip(NEXT) | instid1(VALU_DEP_2)
	v_and_b32_e32 v1, 0xffff, v1
	v_lshlrev_b32_e32 v0, 3, v0
	s_delay_alu instid0(VALU_DEP_2)
	v_lshlrev_b32_e32 v1, 3, v1
	s_clause 0x1
	global_load_b128 v[232:235], v0, s[10:11]
	global_load_b128 v[236:239], v1, s[10:11]
	ds_load_2addr_b64 v[0:3], v165 offset0:64 offset1:172
	ds_load_2addr_b64 v[31:34], v164 offset0:120 offset1:228
	s_waitcnt vmcnt(1) lgkmcnt(1)
	v_mul_f32_e32 v4, v1, v233
	s_waitcnt lgkmcnt(0)
	v_dual_mul_f32 v26, v0, v233 :: v_dual_mul_f32 v95, v31, v235
	s_waitcnt vmcnt(0)
	v_mul_f32_e32 v5, v33, v239
	v_fma_f32 v22, v0, v232, -v4
	v_mul_f32_e32 v0, v3, v237
	s_delay_alu instid0(VALU_DEP_3) | instskip(SKIP_1) | instid1(VALU_DEP_3)
	v_dual_fmac_f32 v26, v1, v232 :: v_dual_fmac_f32 v5, v34, v238
	v_fmac_f32_e32 v95, v32, v234
	v_fma_f32 v1, v2, v236, -v0
	v_mul_f32_e32 v0, v32, v235
	v_mul_f32_e32 v2, v2, v237
	s_delay_alu instid0(VALU_DEP_2) | instskip(SKIP_1) | instid1(VALU_DEP_3)
	v_fma_f32 v94, v31, v234, -v0
	v_mul_f32_e32 v0, v34, v239
	v_dual_fmac_f32 v2, v3, v236 :: v_dual_add_f32 v31, v29, v37
	v_sub_f32_e32 v34, v29, v37
	s_delay_alu instid0(VALU_DEP_3) | instskip(SKIP_1) | instid1(VALU_DEP_1)
	v_fma_f32 v4, v33, v238, -v0
	v_dual_sub_f32 v33, v30, v38 :: v_dual_and_b32 v0, 0xffff, v27
	v_mul_u32_u24_e32 v0, 0xaaab, v0
	s_delay_alu instid0(VALU_DEP_1) | instskip(NEXT) | instid1(VALU_DEP_1)
	v_lshrrev_b32_e32 v47, 17, v0
	v_mul_lo_u16 v0, v47, 3
	s_delay_alu instid0(VALU_DEP_1) | instskip(SKIP_1) | instid1(VALU_DEP_1)
	v_sub_nc_u16 v48, v27, v0
	v_and_b32_e32 v0, 0xffff, v28
	v_mul_u32_u24_e32 v0, 0xaaab, v0
	s_delay_alu instid0(VALU_DEP_1) | instskip(NEXT) | instid1(VALU_DEP_1)
	v_lshrrev_b32_e32 v45, 17, v0
	v_mul_lo_u16 v0, v45, 3
	s_delay_alu instid0(VALU_DEP_1) | instskip(SKIP_1) | instid1(VALU_DEP_2)
	v_sub_nc_u16 v46, v28, v0
	v_lshlrev_b16 v0, 1, v48
	v_lshlrev_b16 v3, 1, v46
	s_delay_alu instid0(VALU_DEP_2) | instskip(NEXT) | instid1(VALU_DEP_2)
	v_and_b32_e32 v0, 0xffff, v0
	v_and_b32_e32 v3, 0xffff, v3
	s_delay_alu instid0(VALU_DEP_2) | instskip(NEXT) | instid1(VALU_DEP_2)
	v_lshlrev_b32_e32 v0, 3, v0
	v_lshlrev_b32_e32 v3, 3, v3
	s_clause 0x1
	global_load_b128 v[211:214], v0, s[10:11]
	global_load_b128 v[215:218], v3, s[10:11]
	ds_load_2addr_b64 v[49:52], v97 offset0:24 offset1:132
	ds_load_2addr_b64 v[64:67], v96 offset0:80 offset1:188
	s_waitcnt vmcnt(1) lgkmcnt(1)
	v_mul_f32_e32 v0, v50, v212
	s_waitcnt vmcnt(0)
	v_mul_f32_e32 v3, v52, v216
	s_waitcnt lgkmcnt(0)
	v_mul_f32_e32 v54, v64, v214
	v_mul_f32_e32 v27, v67, v218
	v_fma_f32 v53, v49, v211, -v0
	v_mul_f32_e32 v0, v49, v212
	v_fma_f32 v49, v51, v215, -v3
	s_delay_alu instid0(VALU_DEP_2) | instskip(SKIP_1) | instid1(VALU_DEP_2)
	v_dual_mul_f32 v3, v65, v214 :: v_dual_fmac_f32 v0, v50, v211
	v_mul_f32_e32 v50, v51, v216
	v_fma_f32 v3, v64, v213, -v3
	v_fma_f32 v51, v66, v217, -v27
	s_delay_alu instid0(VALU_DEP_3) | instskip(SKIP_1) | instid1(VALU_DEP_1)
	v_fmac_f32_e32 v50, v52, v215
	v_mul_f32_e32 v52, v66, v218
	v_fmac_f32_e32 v52, v67, v217
	v_fmac_f32_e32 v54, v65, v213
	ds_load_2addr_b64 v[64:67], v178 offset1:108
	s_waitcnt lgkmcnt(0)
	v_add_f32_e32 v27, v65, v30
	v_add_f32_e32 v30, v30, v38
	s_delay_alu instid0(VALU_DEP_2) | instskip(SKIP_2) | instid1(VALU_DEP_4)
	v_dual_add_f32 v28, v27, v38 :: v_dual_add_f32 v27, v64, v29
	v_fma_f32 v29, -0.5, v31, v64
	v_and_b32_e32 v31, 0xffff, v42
	v_fma_f32 v30, -0.5, v30, v65
	s_delay_alu instid0(VALU_DEP_4) | instskip(NEXT) | instid1(VALU_DEP_3)
	v_add_f32_e32 v27, v27, v37
	v_mul_u32_u24_e32 v31, 9, v31
	s_delay_alu instid0(VALU_DEP_3) | instskip(SKIP_2) | instid1(VALU_DEP_4)
	v_fmamk_f32 v32, v34, 0xbf5db3d7, v30
	v_fmac_f32_e32 v30, 0x3f5db3d7, v34
	v_sub_f32_e32 v34, v87, v89
	v_add_lshl_u32 v37, v31, v44, 3
	v_fmamk_f32 v31, v33, 0x3f5db3d7, v29
	v_fmac_f32_e32 v29, 0xbf5db3d7, v33
	scratch_store_b32 off, v37, off offset:324 ; 4-byte Folded Spill
	ds_load_2addr_b64 v[71:74], v224 offset0:88 offset1:196
	ds_load_2addr_b64 v[75:78], v225 offset0:48 offset1:156
	;; [unrolled: 1-line block ×4, first 2 shown]
	s_waitcnt lgkmcnt(0)
	s_waitcnt_vscnt null, 0x0
	s_barrier
	buffer_gl0_inv
	ds_store_b64 v37, v[29:30] offset:48
	v_add_f32_e32 v29, v36, v59
	ds_store_2addr_b64 v37, v[27:28], v[31:32] offset1:3
	v_add_f32_e32 v27, v67, v36
	v_add_f32_e32 v30, v35, v39
	v_sub_f32_e32 v31, v36, v59
	v_fmac_f32_e32 v67, -0.5, v29
	s_delay_alu instid0(VALU_DEP_4) | instskip(SKIP_3) | instid1(VALU_DEP_4)
	v_dual_add_f32 v28, v27, v59 :: v_dual_and_b32 v29, 0xffff, v41
	v_add_f32_e32 v27, v66, v35
	v_sub_f32_e32 v32, v35, v39
	v_fma_f32 v66, -0.5, v30, v66
	v_mul_u32_u24_e32 v29, 9, v29
	v_add_f32_e32 v23, v72, v88
	s_delay_alu instid0(VALU_DEP_4) | instskip(SKIP_1) | instid1(VALU_DEP_4)
	v_dual_add_f32 v27, v27, v39 :: v_dual_fmamk_f32 v30, v32, 0xbf5db3d7, v67
	v_fmac_f32_e32 v67, 0x3f5db3d7, v32
	v_add_lshl_u32 v33, v29, v43, 3
	v_fmamk_f32 v29, v31, 0x3f5db3d7, v66
	v_fmac_f32_e32 v66, 0xbf5db3d7, v31
	v_add_f32_e32 v8, v74, v11
	s_clause 0x1
	scratch_store_b32 off, v20, off offset:336
	scratch_store_b32 off, v6, off offset:340
	ds_store_2addr_b64 v33, v[27:28], v[29:30] offset1:3
	v_add_f32_e32 v28, v23, v90
	v_dual_add_f32 v23, v71, v87 :: v_dual_add_f32 v30, v88, v90
	scratch_store_b32 off, v33, off offset:328 ; 4-byte Folded Spill
	ds_store_b64 v33, v[66:67] offset:48
	v_sub_f32_e32 v33, v88, v90
	v_add_f32_e32 v27, v23, v89
	v_add_f32_e32 v23, v87, v89
	v_fma_f32 v30, -0.5, v30, v72
	v_dual_mov_b32 v66, v98 :: v_dual_mov_b32 v89, v171
	v_mov_b32_e32 v67, v168
	s_delay_alu instid0(VALU_DEP_4) | instskip(NEXT) | instid1(VALU_DEP_4)
	v_fma_f32 v29, -0.5, v23, v71
	v_fmamk_f32 v32, v34, 0xbf5db3d7, v30
	v_dual_fmac_f32 v30, 0x3f5db3d7, v34 :: v_dual_sub_f32 v23, v25, v92
	s_delay_alu instid0(VALU_DEP_3)
	v_fmamk_f32 v31, v33, 0x3f5db3d7, v29
	v_fmac_f32_e32 v29, 0xbf5db3d7, v33
	ds_store_2addr_b64 v20, v[27:28], v[31:32] offset1:3
	v_add_f32_e32 v28, v8, v18
	v_add_f32_e32 v8, v73, v10
	ds_store_b64 v20, v[29:30] offset:48
	v_sub_f32_e32 v20, v11, v18
	v_dual_add_f32 v11, v11, v18 :: v_dual_mov_b32 v88, v162
	v_add_f32_e32 v27, v8, v17
	v_add_f32_e32 v8, v10, v17
	s_delay_alu instid0(VALU_DEP_3) | instskip(NEXT) | instid1(VALU_DEP_2)
	v_dual_sub_f32 v17, v10, v17 :: v_dual_fmac_f32 v74, -0.5, v11
	v_fma_f32 v73, -0.5, v8, v73
	s_delay_alu instid0(VALU_DEP_2) | instskip(SKIP_1) | instid1(VALU_DEP_3)
	v_dual_add_f32 v8, v76, v91 :: v_dual_fmamk_f32 v11, v17, 0xbf5db3d7, v74
	v_fmac_f32_e32 v74, 0x3f5db3d7, v17
	v_fmamk_f32 v10, v20, 0x3f5db3d7, v73
	v_dual_fmac_f32 v73, 0xbf5db3d7, v20 :: v_dual_sub_f32 v20, v91, v93
	ds_store_2addr_b64 v6, v[27:28], v[10:11] offset1:3
	v_add_f32_e32 v11, v8, v93
	v_add_f32_e32 v8, v75, v25
	ds_store_b64 v6, v[73:74] offset:48
	v_mad_u16 v6, v14, 9, v15
	v_add_f32_e32 v15, v91, v93
	v_dual_mov_b32 v73, v166 :: v_dual_add_f32 v10, v8, v92
	v_add_f32_e32 v8, v25, v92
	s_delay_alu instid0(VALU_DEP_4) | instskip(NEXT) | instid1(VALU_DEP_4)
	v_and_b32_e32 v6, 0xffff, v6
	v_fma_f32 v15, -0.5, v15, v76
	s_delay_alu instid0(VALU_DEP_3) | instskip(NEXT) | instid1(VALU_DEP_3)
	v_fma_f32 v14, -0.5, v8, v75
	v_lshlrev_b32_e32 v6, 3, v6
	s_delay_alu instid0(VALU_DEP_3)
	v_fmamk_f32 v18, v23, 0xbf5db3d7, v15
	v_fmac_f32_e32 v15, 0x3f5db3d7, v23
	v_mad_u16 v8, v7, 9, v9
	v_fmamk_f32 v17, v20, 0x3f5db3d7, v14
	v_fmac_f32_e32 v14, 0xbf5db3d7, v20
	scratch_store_b32 off, v6, off offset:332 ; 4-byte Folded Spill
	v_and_b32_e32 v8, 0xffff, v8
	ds_store_2addr_b64 v6, v[10:11], v[17:18] offset1:3
	ds_store_b64 v6, v[14:15] offset:48
	v_dual_add_f32 v6, v78, v19 :: v_dual_add_f32 v11, v16, v21
	v_sub_f32_e32 v10, v19, v24
	s_delay_alu instid0(VALU_DEP_2) | instskip(SKIP_1) | instid1(VALU_DEP_4)
	v_dual_sub_f32 v14, v16, v21 :: v_dual_add_f32 v7, v6, v24
	v_add_f32_e32 v6, v77, v16
	v_fma_f32 v77, -0.5, v11, v77
	s_delay_alu instid0(VALU_DEP_2) | instskip(NEXT) | instid1(VALU_DEP_2)
	v_dual_add_f32 v6, v6, v21 :: v_dual_lshlrev_b32 v11, 3, v8
	v_fmamk_f32 v8, v10, 0x3f5db3d7, v77
	v_fmac_f32_e32 v77, 0xbf5db3d7, v10
	v_mad_u16 v10, v12, 9, v13
	v_sub_f32_e32 v13, v22, v94
	v_dual_add_f32 v9, v19, v24 :: v_dual_sub_f32 v12, v26, v95
	s_delay_alu instid0(VALU_DEP_3) | instskip(NEXT) | instid1(VALU_DEP_2)
	v_and_b32_e32 v10, 0xffff, v10
	v_fmac_f32_e32 v78, -0.5, v9
	s_delay_alu instid0(VALU_DEP_1) | instskip(SKIP_1) | instid1(VALU_DEP_4)
	v_fmamk_f32 v9, v14, 0xbf5db3d7, v78
	v_fmac_f32_e32 v78, 0x3f5db3d7, v14
	v_lshlrev_b32_e32 v14, 3, v10
	scratch_store_b32 off, v11, off offset:344 ; 4-byte Folded Spill
	ds_store_2addr_b64 v11, v[6:7], v[8:9] offset1:3
	v_dual_add_f32 v6, v80, v26 :: v_dual_add_f32 v9, v26, v95
	v_add_f32_e32 v8, v22, v94
	ds_store_b64 v11, v[77:78] offset:48
	v_dual_add_f32 v7, v6, v95 :: v_dual_add_f32 v6, v79, v22
	v_fma_f32 v8, -0.5, v8, v79
	v_fma_f32 v9, -0.5, v9, v80
	s_delay_alu instid0(VALU_DEP_3) | instskip(NEXT) | instid1(VALU_DEP_3)
	v_add_f32_e32 v6, v6, v94
	v_fmamk_f32 v10, v12, 0x3f5db3d7, v8
	s_delay_alu instid0(VALU_DEP_3)
	v_dual_fmamk_f32 v11, v13, 0xbf5db3d7, v9 :: v_dual_fmac_f32 v8, 0xbf5db3d7, v12
	v_fmac_f32_e32 v9, 0x3f5db3d7, v13
	ds_store_2addr_b64 v14, v[6:7], v[10:11] offset1:3
	v_add_f32_e32 v6, v82, v2
	ds_store_b64 v14, v[8:9] offset:48
	v_sub_f32_e32 v7, v2, v5
	v_add_f32_e32 v2, v2, v5
	v_mad_u16 v8, v55, 9, v58
	v_add_f32_e32 v6, v6, v5
	v_add_f32_e32 v5, v81, v1
	s_delay_alu instid0(VALU_DEP_4) | instskip(NEXT) | instid1(VALU_DEP_4)
	v_dual_add_f32 v9, v1, v4 :: v_dual_fmac_f32 v82, -0.5, v2
	v_and_b32_e32 v8, 0xffff, v8
	s_delay_alu instid0(VALU_DEP_3) | instskip(SKIP_1) | instid1(VALU_DEP_4)
	v_add_f32_e32 v5, v5, v4
	v_sub_f32_e32 v4, v1, v4
	v_fma_f32 v81, -0.5, v9, v81
	s_delay_alu instid0(VALU_DEP_4) | instskip(NEXT) | instid1(VALU_DEP_3)
	v_lshlrev_b32_e32 v8, 3, v8
	v_fmamk_f32 v2, v4, 0xbf5db3d7, v82
	s_delay_alu instid0(VALU_DEP_3)
	v_fmamk_f32 v1, v7, 0x3f5db3d7, v81
	v_fmac_f32_e32 v81, 0xbf5db3d7, v7
	v_fmac_f32_e32 v82, 0x3f5db3d7, v4
	v_add_f32_e32 v4, v0, v54
	scratch_store_b32 off, v8, off offset:356 ; 4-byte Folded Spill
	ds_store_2addr_b64 v8, v[5:6], v[1:2] offset1:3
	v_add_f32_e32 v1, v84, v0
	v_sub_f32_e32 v6, v0, v54
	v_add_f32_e32 v0, v83, v53
	v_mad_u16 v5, v47, 9, v48
	v_add_f32_e32 v2, v53, v3
	ds_store_b64 v8, v[81:82] offset:48
	v_sub_f32_e32 v7, v53, v3
	v_add_f32_e32 v0, v0, v3
	v_fma_f32 v3, -0.5, v4, v84
	v_fma_f32 v2, -0.5, v2, v83
	v_dual_add_f32 v1, v1, v54 :: v_dual_and_b32 v8, 0xffff, v5
	s_delay_alu instid0(VALU_DEP_3) | instskip(NEXT) | instid1(VALU_DEP_3)
	v_fmamk_f32 v5, v7, 0xbf5db3d7, v3
	v_fmamk_f32 v4, v6, 0x3f5db3d7, v2
	s_delay_alu instid0(VALU_DEP_3)
	v_lshlrev_b32_e32 v8, 3, v8
	v_fmac_f32_e32 v2, 0xbf5db3d7, v6
	v_fmac_f32_e32 v3, 0x3f5db3d7, v7
	ds_store_2addr_b64 v8, v[0:1], v[4:5] offset1:3
	v_add_f32_e32 v0, v49, v51
	ds_store_b64 v8, v[2:3] offset:48
	v_mad_u16 v3, v45, 9, v46
	v_add_f32_e32 v4, v50, v52
	v_add_f32_e32 v2, v85, v49
	v_fma_f32 v85, -0.5, v0, v85
	v_add_f32_e32 v0, v86, v50
	v_sub_f32_e32 v5, v50, v52
	v_fmac_f32_e32 v86, -0.5, v4
	v_sub_f32_e32 v4, v49, v51
	s_delay_alu instid0(VALU_DEP_4) | instskip(SKIP_2) | instid1(VALU_DEP_3)
	v_dual_add_f32 v1, v0, v52 :: v_dual_and_b32 v6, 0xffff, v3
	v_add_f32_e32 v0, v2, v51
	v_fmamk_f32 v2, v5, 0x3f5db3d7, v85
	v_dual_fmamk_f32 v3, v4, 0xbf5db3d7, v86 :: v_dual_lshlrev_b32 v6, 3, v6
	v_fmac_f32_e32 v85, 0xbf5db3d7, v5
	v_fmac_f32_e32 v86, 0x3f5db3d7, v4
	s_clause 0x2
	scratch_store_b32 off, v14, off offset:348
	scratch_store_b32 off, v8, off offset:360
	;; [unrolled: 1-line block ×3, first 2 shown]
	ds_store_2addr_b64 v6, v[0:1], v[2:3] offset1:3
	v_mul_lo_u16 v0, v40, 57
	ds_store_b64 v6, v[85:86] offset:48
	s_waitcnt lgkmcnt(0)
	s_waitcnt_vscnt null, 0x0
	s_barrier
	buffer_gl0_inv
	v_lshrrev_b16 v44, 9, v0
	v_mul_lo_u16 v0, v57, 57
	v_mov_b32_e32 v86, v163
	v_mov_b32_e32 v85, v167
	s_delay_alu instid0(VALU_DEP_3) | instskip(SKIP_1) | instid1(VALU_DEP_2)
	v_lshrrev_b16 v117, 9, v0
	v_mul_lo_u16 v0, v44, 9
	v_mul_lo_u16 v1, v117, 9
	s_delay_alu instid0(VALU_DEP_2) | instskip(NEXT) | instid1(VALU_DEP_2)
	v_sub_nc_u16 v0, v60, v0
	v_sub_nc_u16 v1, v56, v1
	s_delay_alu instid0(VALU_DEP_2) | instskip(NEXT) | instid1(VALU_DEP_2)
	v_and_b32_e32 v45, 0xff, v0
	v_and_b32_e32 v118, 0xff, v1
	s_delay_alu instid0(VALU_DEP_2)
	v_mad_u64_u32 v[4:5], null, 0x48, v45, s[10:11]
	ds_load_2addr_b64 v[0:3], v98 offset0:136 offset1:244
	s_clause 0x1
	global_load_b128 v[207:210], v[4:5], off offset:48
	global_load_b128 v[203:206], v[4:5], off offset:64
	s_waitcnt vmcnt(1) lgkmcnt(0)
	v_mul_f32_e32 v6, v1, v210
	v_mul_f32_e32 v127, v0, v210
	s_delay_alu instid0(VALU_DEP_2)
	v_fma_f32 v137, v0, v209, -v6
	v_mad_u64_u32 v[6:7], null, 0x48, v118, s[10:11]
	s_clause 0x1
	global_load_b64 v[9:10], v[4:5], off offset:112
	global_load_b128 v[199:202], v[6:7], off offset:48
	s_waitcnt vmcnt(0)
	v_dual_fmac_f32 v127, v1, v209 :: v_dual_mul_f32 v0, v3, v202
	v_mul_f32_e32 v125, v2, v202
	s_delay_alu instid0(VALU_DEP_2) | instskip(NEXT) | instid1(VALU_DEP_2)
	v_fma_f32 v119, v2, v201, -v0
	v_fmac_f32_e32 v125, v3, v201
	ds_load_2addr_b64 v[0:3], v168 offset0:16 offset1:124
	s_clause 0x3
	global_load_b128 v[191:194], v[6:7], off offset:64
	global_load_b128 v[179:182], v[6:7], off offset:80
	;; [unrolled: 1-line block ×4, first 2 shown]
	s_waitcnt lgkmcnt(0)
	v_mul_f32_e32 v8, v1, v206
	v_mul_f32_e32 v147, v0, v206
	s_delay_alu instid0(VALU_DEP_2) | instskip(SKIP_1) | instid1(VALU_DEP_2)
	v_fma_f32 v148, v0, v205, -v8
	s_waitcnt vmcnt(3)
	v_dual_fmac_f32 v147, v1, v205 :: v_dual_mul_f32 v0, v3, v194
	v_mul_f32_e32 v126, v2, v194
	s_delay_alu instid0(VALU_DEP_2) | instskip(NEXT) | instid1(VALU_DEP_2)
	v_fma_f32 v120, v2, v193, -v0
	v_fmac_f32_e32 v126, v3, v193
	ds_load_2addr_b64 v[0:3], v97 offset0:24 offset1:132
	s_waitcnt vmcnt(1) lgkmcnt(0)
	v_mul_f32_e32 v4, v1, v190
	v_mul_f32_e32 v149, v0, v190
	;; [unrolled: 1-line block ×3, first 2 shown]
	s_delay_alu instid0(VALU_DEP_3) | instskip(NEXT) | instid1(VALU_DEP_3)
	v_fma_f32 v150, v0, v189, -v4
	v_dual_mul_f32 v0, v3, v182 :: v_dual_fmac_f32 v149, v1, v189
	s_delay_alu instid0(VALU_DEP_2) | instskip(NEXT) | instid1(VALU_DEP_2)
	v_dual_fmac_f32 v136, v3, v181 :: v_dual_sub_f32 v25, v148, v150
	v_fma_f32 v121, v2, v181, -v0
	ds_load_2addr_b64 v[0:3], v170 offset0:32 offset1:140
	s_clause 0x1
	global_load_b64 v[11:12], v[6:7], off offset:112
	global_load_b128 v[108:111], v[6:7], off offset:96
	v_add_f32_e32 v19, v147, v149
	v_sub_f32_e32 v22, v147, v149
	s_waitcnt vmcnt(2) lgkmcnt(0)
	v_mul_f32_e32 v4, v1, v95
	v_mul_f32_e32 v151, v0, v95
	s_delay_alu instid0(VALU_DEP_2) | instskip(NEXT) | instid1(VALU_DEP_2)
	v_fma_f32 v152, v0, v94, -v4
	v_fmac_f32_e32 v151, v1, v94
	s_delay_alu instid0(VALU_DEP_1)
	v_dual_sub_f32 v24, v137, v152 :: v_dual_sub_f32 v21, v127, v151
	v_sub_f32_e32 v31, v149, v151
	v_add_f32_e32 v30, v127, v151
	s_waitcnt vmcnt(0)
	v_mul_f32_e32 v0, v3, v111
	v_mul_f32_e32 v138, v2, v111
	s_delay_alu instid0(VALU_DEP_2) | instskip(SKIP_1) | instid1(VALU_DEP_3)
	v_fma_f32 v122, v2, v110, -v0
	v_mul_u32_u24_e32 v0, 0xe38f, v70
	v_fmac_f32_e32 v138, v3, v110
	s_delay_alu instid0(VALU_DEP_2) | instskip(NEXT) | instid1(VALU_DEP_1)
	v_lshrrev_b32_e32 v100, 19, v0
	v_mul_lo_u16 v0, v100, 9
	s_delay_alu instid0(VALU_DEP_1) | instskip(NEXT) | instid1(VALU_DEP_1)
	v_sub_nc_u16 v101, v63, v0
	v_mul_lo_u16 v0, 0x48, v101
	s_delay_alu instid0(VALU_DEP_1) | instskip(NEXT) | instid1(VALU_DEP_1)
	v_and_b32_e32 v0, 0xffff, v0
	v_add_co_u32 v4, s2, s10, v0
	s_delay_alu instid0(VALU_DEP_1)
	v_add_co_ci_u32_e64 v5, null, s11, 0, s2
	ds_load_2addr_b64 v[0:3], v225 offset0:48 offset1:156
	s_clause 0x1
	global_load_b128 v[172:175], v[4:5], off offset:48
	global_load_b128 v[96:99], v[4:5], off offset:64
	s_waitcnt lgkmcnt(0)
	v_mul_f32_e32 v6, v1, v200
	v_mul_f32_e32 v124, v0, v200
	s_delay_alu instid0(VALU_DEP_2) | instskip(NEXT) | instid1(VALU_DEP_2)
	v_fma_f32 v123, v0, v199, -v6
	v_fmac_f32_e32 v124, v1, v199
	s_waitcnt vmcnt(1)
	v_mul_f32_e32 v0, v3, v173
	v_mul_f32_e32 v59, v2, v173
	s_delay_alu instid0(VALU_DEP_2) | instskip(NEXT) | instid1(VALU_DEP_2)
	v_fma_f32 v58, v2, v172, -v0
	v_fmac_f32_e32 v59, v3, v172
	ds_load_2addr_b64 v[0:3], v166 offset0:96 offset1:204
	s_waitcnt lgkmcnt(0)
	v_mul_f32_e32 v6, v3, v204
	v_dual_mul_f32 v153, v2, v204 :: v_dual_mul_f32 v80, v0, v175
	s_delay_alu instid0(VALU_DEP_2) | instskip(SKIP_1) | instid1(VALU_DEP_3)
	v_fma_f32 v154, v2, v203, -v6
	v_mul_f32_e32 v2, v1, v175
	v_dual_fmac_f32 v153, v3, v203 :: v_dual_fmac_f32 v80, v1, v174
	s_delay_alu instid0(VALU_DEP_2)
	v_fma_f32 v71, v0, v174, -v2
	ds_load_2addr_b64 v[0:3], v163 offset0:56 offset1:164
	s_waitcnt lgkmcnt(0)
	v_mul_f32_e32 v6, v1, v192
	v_mul_f32_e32 v139, v0, v192
	s_waitcnt vmcnt(0)
	v_mul_f32_e32 v81, v2, v97
	s_delay_alu instid0(VALU_DEP_3) | instskip(NEXT) | instid1(VALU_DEP_3)
	v_fma_f32 v140, v0, v191, -v6
	v_dual_mul_f32 v0, v3, v97 :: v_dual_fmac_f32 v139, v1, v191
	s_delay_alu instid0(VALU_DEP_3) | instskip(NEXT) | instid1(VALU_DEP_2)
	v_fmac_f32_e32 v81, v3, v96
	v_fma_f32 v83, v2, v96, -v0
	ds_load_2addr_b64 v[0:3], v169 offset0:104 offset1:212
	s_waitcnt lgkmcnt(0)
	v_mul_f32_e32 v6, v3, v188
	v_dual_mul_f32 v155, v2, v188 :: v_dual_mul_f32 v102, v0, v99
	s_delay_alu instid0(VALU_DEP_2) | instskip(SKIP_1) | instid1(VALU_DEP_3)
	v_fma_f32 v156, v2, v187, -v6
	v_mul_f32_e32 v2, v1, v99
	v_dual_fmac_f32 v155, v3, v187 :: v_dual_fmac_f32 v102, v1, v98
	s_delay_alu instid0(VALU_DEP_3) | instskip(NEXT) | instid1(VALU_DEP_3)
	v_sub_f32_e32 v32, v156, v154
	v_fma_f32 v82, v0, v98, -v2
	ds_load_2addr_b64 v[0:3], v165 offset0:64 offset1:172
	s_clause 0x1
	global_load_b128 v[128:131], v[4:5], off offset:80
	global_load_b128 v[132:135], v[4:5], off offset:96
	ds_load_2addr_b64 v[52:55], v178 offset1:108
	s_waitcnt lgkmcnt(1)
	v_dual_sub_f32 v35, v155, v153 :: v_dual_mul_f32 v6, v1, v180
	v_mul_f32_e32 v141, v0, v180
	s_waitcnt lgkmcnt(0)
	v_fma_f32 v19, -0.5, v19, v53
	v_fma_f32 v30, -0.5, v30, v53
	v_fma_f32 v142, v0, v179, -v6
	v_fmac_f32_e32 v141, v1, v179
	s_delay_alu instid0(VALU_DEP_4) | instskip(SKIP_1) | instid1(VALU_DEP_2)
	v_fmamk_f32 v26, v24, 0xbf737871, v19
	v_fmac_f32_e32 v19, 0x3f737871, v24
	v_fmac_f32_e32 v26, 0xbf167918, v25
	s_delay_alu instid0(VALU_DEP_2) | instskip(SKIP_3) | instid1(VALU_DEP_2)
	v_fmac_f32_e32 v19, 0x3f167918, v25
	s_waitcnt vmcnt(1)
	v_mul_f32_e32 v0, v3, v129
	v_mul_f32_e32 v104, v2, v129
	v_fma_f32 v105, v2, v128, -v0
	s_delay_alu instid0(VALU_DEP_2) | instskip(SKIP_4) | instid1(VALU_DEP_2)
	v_fmac_f32_e32 v104, v3, v128
	ds_load_2addr_b64 v[0:3], v162 offset0:112 offset1:220
	s_waitcnt lgkmcnt(0)
	v_mul_f32_e32 v6, v3, v93
	v_dual_mul_f32 v157, v2, v93 :: v_dual_mul_f32 v106, v0, v131
	v_fma_f32 v158, v2, v92, -v6
	s_delay_alu instid0(VALU_DEP_2) | instskip(NEXT) | instid1(VALU_DEP_3)
	v_dual_mul_f32 v2, v1, v131 :: v_dual_fmac_f32 v157, v3, v92
	v_fmac_f32_e32 v106, v1, v130
	s_delay_alu instid0(VALU_DEP_3) | instskip(NEXT) | instid1(VALU_DEP_3)
	v_sub_f32_e32 v13, v156, v158
	v_fma_f32 v103, v0, v130, -v2
	ds_load_2addr_b64 v[0:3], v167 offset0:72 offset1:180
	v_sub_f32_e32 v15, v155, v157
	s_waitcnt lgkmcnt(0)
	v_mul_f32_e32 v6, v1, v109
	v_mul_f32_e32 v143, v0, v109
	s_waitcnt vmcnt(0)
	v_mul_f32_e32 v107, v2, v133
	s_delay_alu instid0(VALU_DEP_3) | instskip(NEXT) | instid1(VALU_DEP_3)
	v_fma_f32 v144, v0, v108, -v6
	v_dual_mul_f32 v0, v3, v133 :: v_dual_fmac_f32 v143, v1, v108
	s_delay_alu instid0(VALU_DEP_3) | instskip(NEXT) | instid1(VALU_DEP_2)
	v_fmac_f32_e32 v107, v3, v132
	v_fma_f32 v113, v2, v132, -v0
	ds_load_2addr_b64 v[0:3], v164 offset0:120 offset1:228
	s_waitcnt lgkmcnt(0)
	v_mul_f32_e32 v6, v3, v10
	v_dual_mul_f32 v159, v2, v10 :: v_dual_mul_f32 v114, v0, v135
	s_delay_alu instid0(VALU_DEP_2)
	v_fma_f32 v160, v2, v9, -v6
	global_load_b64 v[5:6], v[4:5], off offset:112
	v_dual_mul_f32 v2, v1, v135 :: v_dual_fmac_f32 v159, v3, v9
	v_fmac_f32_e32 v114, v1, v134
	s_clause 0x1
	scratch_store_b64 off, v[9:10], off offset:440
	scratch_store_b64 off, v[11:12], off offset:468
	v_fma_f32 v112, v0, v134, -v2
	ds_load_2addr_b64 v[0:3], v171 offset0:80 offset1:188
	v_sub_f32_e32 v14, v153, v159
	v_sub_f32_e32 v34, v158, v160
	v_dual_add_f32 v33, v154, v160 :: v_dual_add_f32 v36, v153, v159
	v_sub_f32_e32 v37, v157, v159
	s_waitcnt lgkmcnt(0)
	v_mul_f32_e32 v4, v1, v12
	v_mul_f32_e32 v145, v0, v12
	v_sub_f32_e32 v12, v154, v160
	s_delay_alu instid0(VALU_DEP_3) | instskip(NEXT) | instid1(VALU_DEP_3)
	v_fma_f32 v146, v0, v11, -v4
	v_fmac_f32_e32 v145, v1, v11
	v_sub_f32_e32 v1, v152, v150
	s_waitcnt vmcnt(0)
	v_mul_f32_e32 v0, v3, v6
	v_mul_f32_e32 v115, v2, v6
	scratch_store_b64 off, v[5:6], off offset:448 ; 8-byte Folded Spill
	v_fma_f32 v116, v2, v5, -v0
	v_dual_fmac_f32 v115, v3, v5 :: v_dual_and_b32 v0, 0xffff, v44
	s_delay_alu instid0(VALU_DEP_1) | instskip(NEXT) | instid1(VALU_DEP_1)
	v_mul_u32_u24_e32 v0, 0x5a, v0
	v_add_lshl_u32 v38, v0, v45, 3
	v_sub_f32_e32 v0, v137, v148
	ds_load_2addr_b64 v[44:47], v224 offset0:88 offset1:196
	s_waitcnt lgkmcnt(0)
	s_waitcnt_vscnt null, 0x0
	s_barrier
	buffer_gl0_inv
	v_add_f32_e32 v4, v0, v1
	v_sub_f32_e32 v0, v127, v147
	v_sub_f32_e32 v1, v151, v149
	s_delay_alu instid0(VALU_DEP_1) | instskip(NEXT) | instid1(VALU_DEP_1)
	v_dual_add_f32 v5, v0, v1 :: v_dual_sub_f32 v0, v154, v156
	v_dual_sub_f32 v1, v160, v158 :: v_dual_fmac_f32 v26, 0x3e9e377a, v5
	v_fmac_f32_e32 v19, 0x3e9e377a, v5
	s_delay_alu instid0(VALU_DEP_2) | instskip(SKIP_2) | instid1(VALU_DEP_2)
	v_add_f32_e32 v6, v0, v1
	v_dual_sub_f32 v0, v153, v155 :: v_dual_sub_f32 v1, v159, v157
	v_mul_f32_e32 v9, v46, v208
	v_dual_add_f32 v7, v0, v1 :: v_dual_mul_f32 v0, v47, v208
	s_delay_alu instid0(VALU_DEP_2) | instskip(NEXT) | instid1(VALU_DEP_2)
	v_fmac_f32_e32 v9, v47, v207
	v_fma_f32 v8, v46, v207, -v0
	s_delay_alu instid0(VALU_DEP_2) | instskip(NEXT) | instid1(VALU_DEP_2)
	v_dual_add_f32 v0, v156, v158 :: v_dual_add_f32 v3, v9, v153
	v_add_f32_e32 v2, v8, v154
	s_delay_alu instid0(VALU_DEP_2) | instskip(SKIP_1) | instid1(VALU_DEP_4)
	v_fma_f32 v10, -0.5, v0, v8
	v_add_f32_e32 v0, v155, v157
	v_dual_add_f32 v3, v3, v155 :: v_dual_fmac_f32 v8, -0.5, v33
	s_delay_alu instid0(VALU_DEP_4) | instskip(NEXT) | instid1(VALU_DEP_4)
	v_add_f32_e32 v2, v2, v156
	v_fmamk_f32 v1, v14, 0x3f737871, v10
	s_delay_alu instid0(VALU_DEP_4) | instskip(NEXT) | instid1(VALU_DEP_4)
	v_fma_f32 v11, -0.5, v0, v9
	v_dual_fmac_f32 v10, 0xbf737871, v14 :: v_dual_add_f32 v3, v3, v157
	s_delay_alu instid0(VALU_DEP_3) | instskip(NEXT) | instid1(VALU_DEP_3)
	v_dual_add_f32 v2, v2, v158 :: v_dual_fmac_f32 v1, 0x3f167918, v15
	v_fmamk_f32 v0, v12, 0xbf737871, v11
	v_fmac_f32_e32 v11, 0x3f737871, v12
	s_delay_alu instid0(VALU_DEP_4)
	v_fmac_f32_e32 v10, 0xbf167918, v15
	v_add_f32_e32 v29, v3, v159
	v_fmac_f32_e32 v1, 0x3e9e377a, v6
	v_fmac_f32_e32 v0, 0xbf167918, v13
	;; [unrolled: 1-line block ×3, first 2 shown]
	v_dual_fmac_f32 v10, 0x3e9e377a, v6 :: v_dual_fmac_f32 v9, -0.5, v36
	s_delay_alu instid0(VALU_DEP_4) | instskip(NEXT) | instid1(VALU_DEP_4)
	v_mul_f32_e32 v17, 0xbf167918, v1
	v_fmac_f32_e32 v0, 0x3e9e377a, v7
	s_delay_alu instid0(VALU_DEP_4) | instskip(NEXT) | instid1(VALU_DEP_2)
	v_fmac_f32_e32 v11, 0x3e9e377a, v7
	v_mul_f32_e32 v16, 0x3f167918, v0
	s_delay_alu instid0(VALU_DEP_4) | instskip(NEXT) | instid1(VALU_DEP_3)
	v_dual_fmac_f32 v17, 0x3f4f1bbd, v0 :: v_dual_add_f32 v0, v52, v137
	v_mul_f32_e32 v5, 0xbf4f1bbd, v11
	s_delay_alu instid0(VALU_DEP_3) | instskip(NEXT) | instid1(VALU_DEP_3)
	v_dual_fmac_f32 v16, 0x3f4f1bbd, v1 :: v_dual_add_f32 v1, v148, v150
	v_dual_add_f32 v0, v0, v148 :: v_dual_add_f32 v3, v26, v17
	s_delay_alu instid0(VALU_DEP_3) | instskip(NEXT) | instid1(VALU_DEP_3)
	v_fmac_f32_e32 v5, 0xbf167918, v10
	v_fma_f32 v18, -0.5, v1, v52
	s_delay_alu instid0(VALU_DEP_3) | instskip(NEXT) | instid1(VALU_DEP_2)
	v_dual_add_f32 v1, v53, v127 :: v_dual_add_f32 v0, v0, v150
	v_fmamk_f32 v23, v21, 0x3f737871, v18
	s_delay_alu instid0(VALU_DEP_2) | instskip(NEXT) | instid1(VALU_DEP_2)
	v_dual_fmac_f32 v18, 0xbf737871, v21 :: v_dual_add_f32 v1, v1, v147
	v_dual_add_f32 v20, v0, v152 :: v_dual_fmac_f32 v23, 0x3f167918, v22
	s_delay_alu instid0(VALU_DEP_2) | instskip(NEXT) | instid1(VALU_DEP_2)
	v_dual_fmac_f32 v18, 0xbf167918, v22 :: v_dual_add_f32 v1, v1, v149
	v_fmac_f32_e32 v23, 0x3e9e377a, v4
	s_delay_alu instid0(VALU_DEP_2) | instskip(NEXT) | instid1(VALU_DEP_3)
	v_fmac_f32_e32 v18, 0x3e9e377a, v4
	v_dual_mul_f32 v4, 0xbf4f1bbd, v10 :: v_dual_add_f32 v27, v1, v151
	v_sub_f32_e32 v10, v140, v146
	s_delay_alu instid0(VALU_DEP_2) | instskip(NEXT) | instid1(VALU_DEP_3)
	v_dual_fmac_f32 v4, 0x3f167918, v11 :: v_dual_sub_f32 v11, v142, v144
	v_dual_add_f32 v28, v2, v160 :: v_dual_add_f32 v1, v27, v29
	v_add_f32_e32 v2, v23, v16
	s_delay_alu instid0(VALU_DEP_2) | instskip(SKIP_3) | instid1(VALU_DEP_1)
	v_add_f32_e32 v0, v20, v28
	ds_store_2addr_b64 v38, v[0:1], v[2:3] offset1:9
	v_dual_sub_f32 v0, v148, v137 :: v_dual_add_f32 v1, v137, v152
	v_dual_sub_f32 v2, v150, v152 :: v_dual_sub_f32 v3, v147, v127
	v_add_f32_e32 v0, v0, v2
	s_delay_alu instid0(VALU_DEP_2) | instskip(NEXT) | instid1(VALU_DEP_4)
	v_dual_add_f32 v2, v3, v31 :: v_dual_add_f32 v3, v32, v34
	v_fma_f32 v32, -0.5, v1, v52
	v_fmamk_f32 v1, v13, 0x3f737871, v9
	v_fmac_f32_e32 v9, 0xbf737871, v13
	v_dual_add_f32 v31, v35, v37 :: v_dual_fmamk_f32 v34, v25, 0x3f737871, v30
	s_delay_alu instid0(VALU_DEP_4)
	v_fmamk_f32 v33, v22, 0xbf737871, v32
	v_fmac_f32_e32 v32, 0x3f737871, v22
	v_fmac_f32_e32 v1, 0xbf167918, v12
	;; [unrolled: 1-line block ×11, first 2 shown]
	v_fmamk_f32 v0, v15, 0xbf737871, v8
	v_fmac_f32_e32 v8, 0x3f737871, v15
	v_fmac_f32_e32 v30, 0x3f167918, v24
	v_mul_f32_e32 v31, 0x3f737871, v1
	v_fmac_f32_e32 v34, 0x3e9e377a, v2
	v_fmac_f32_e32 v0, 0x3f167918, v14
	;; [unrolled: 1-line block ×4, first 2 shown]
	v_dual_sub_f32 v12, v139, v145 :: v_dual_sub_f32 v13, v141, v143
	s_delay_alu instid0(VALU_DEP_4) | instskip(NEXT) | instid1(VALU_DEP_4)
	v_fmac_f32_e32 v0, 0x3e9e377a, v3
	v_fmac_f32_e32 v8, 0x3e9e377a, v3
	v_sub_f32_e32 v22, v119, v122
	s_delay_alu instid0(VALU_DEP_3) | instskip(NEXT) | instid1(VALU_DEP_3)
	v_dual_sub_f32 v24, v120, v121 :: v_dual_mul_f32 v35, 0xbf737871, v0
	v_mul_f32_e32 v36, 0xbe9e377a, v8
	v_fmac_f32_e32 v31, 0x3e9e377a, v0
	v_mov_b32_e32 v91, v66
	s_delay_alu instid0(VALU_DEP_4) | instskip(NEXT) | instid1(VALU_DEP_4)
	v_fmac_f32_e32 v35, 0x3e9e377a, v1
	v_fmac_f32_e32 v36, 0x3f737871, v9
	s_delay_alu instid0(VALU_DEP_4) | instskip(NEXT) | instid1(VALU_DEP_2)
	v_dual_mul_f32 v9, 0xbe9e377a, v9 :: v_dual_add_f32 v0, v33, v31
	v_dual_add_f32 v1, v34, v35 :: v_dual_add_f32 v2, v32, v36
	s_delay_alu instid0(VALU_DEP_2) | instskip(NEXT) | instid1(VALU_DEP_1)
	v_fmac_f32_e32 v9, 0xbf737871, v8
	v_add_f32_e32 v3, v30, v9
	ds_store_2addr_b64 v38, v[0:1], v[2:3] offset0:18 offset1:27
	v_dual_sub_f32 v0, v20, v28 :: v_dual_sub_f32 v1, v27, v29
	v_dual_add_f32 v2, v18, v4 :: v_dual_add_f32 v3, v19, v5
	v_sub_f32_e32 v20, v126, v136
	v_dual_sub_f32 v28, v144, v146 :: v_dual_sub_f32 v29, v141, v139
	ds_store_2addr_b64 v38, v[2:3], v[0:1] offset0:36 offset1:45
	v_dual_sub_f32 v0, v23, v16 :: v_dual_sub_f32 v1, v26, v17
	v_sub_f32_e32 v2, v33, v31
	v_sub_f32_e32 v3, v34, v35
	;; [unrolled: 1-line block ×3, first 2 shown]
	ds_store_2addr_b64 v38, v[0:1], v[2:3] offset0:54 offset1:63
	v_dual_sub_f32 v0, v32, v36 :: v_dual_sub_f32 v1, v30, v9
	v_dual_sub_f32 v2, v18, v4 :: v_dual_sub_f32 v3, v19, v5
	v_add_f32_e32 v30, v139, v145
	ds_store_2addr_b64 v38, v[0:1], v[2:3] offset0:72 offset1:81
	v_dual_sub_f32 v0, v119, v120 :: v_dual_sub_f32 v1, v122, v121
	v_dual_add_f32 v3, v126, v136 :: v_dual_sub_f32 v18, v125, v138
	s_delay_alu instid0(VALU_DEP_2) | instskip(SKIP_1) | instid1(VALU_DEP_3)
	v_add_f32_e32 v4, v0, v1
	v_dual_sub_f32 v0, v125, v126 :: v_dual_sub_f32 v1, v138, v136
	v_fma_f32 v21, -0.5, v3, v55
	s_delay_alu instid0(VALU_DEP_2) | instskip(SKIP_1) | instid1(VALU_DEP_3)
	v_add_f32_e32 v5, v0, v1
	v_dual_sub_f32 v0, v140, v142 :: v_dual_sub_f32 v1, v146, v144
	v_dual_add_f32 v2, v124, v139 :: v_dual_fmamk_f32 v23, v22, 0xbf737871, v21
	s_delay_alu instid0(VALU_DEP_2) | instskip(SKIP_1) | instid1(VALU_DEP_3)
	v_dual_fmac_f32 v21, 0x3f737871, v22 :: v_dual_add_f32 v6, v0, v1
	v_dual_sub_f32 v0, v139, v141 :: v_dual_sub_f32 v1, v145, v143
	v_dual_add_f32 v2, v2, v141 :: v_dual_fmac_f32 v23, 0xbf167918, v24
	s_delay_alu instid0(VALU_DEP_3) | instskip(NEXT) | instid1(VALU_DEP_3)
	v_fmac_f32_e32 v21, 0x3f167918, v24
	v_dual_add_f32 v7, v0, v1 :: v_dual_add_f32 v0, v142, v144
	s_delay_alu instid0(VALU_DEP_3) | instskip(NEXT) | instid1(VALU_DEP_3)
	v_dual_add_f32 v2, v2, v143 :: v_dual_fmac_f32 v23, 0x3e9e377a, v5
	v_fmac_f32_e32 v21, 0x3e9e377a, v5
	s_delay_alu instid0(VALU_DEP_3) | instskip(NEXT) | instid1(VALU_DEP_3)
	v_fma_f32 v8, -0.5, v0, v123
	v_dual_add_f32 v0, v141, v143 :: v_dual_add_f32 v27, v2, v145
	s_delay_alu instid0(VALU_DEP_2) | instskip(NEXT) | instid1(VALU_DEP_2)
	v_fmamk_f32 v1, v12, 0x3f737871, v8
	v_fma_f32 v9, -0.5, v0, v124
	v_fmac_f32_e32 v124, -0.5, v30
	v_fmac_f32_e32 v8, 0xbf737871, v12
	s_delay_alu instid0(VALU_DEP_4) | instskip(NEXT) | instid1(VALU_DEP_4)
	v_fmac_f32_e32 v1, 0x3f167918, v13
	v_fmamk_f32 v0, v10, 0xbf737871, v9
	v_fmac_f32_e32 v9, 0x3f737871, v10
	s_delay_alu instid0(VALU_DEP_4) | instskip(NEXT) | instid1(VALU_DEP_4)
	v_fmac_f32_e32 v8, 0xbf167918, v13
	v_fmac_f32_e32 v1, 0x3e9e377a, v6
	s_delay_alu instid0(VALU_DEP_4) | instskip(NEXT) | instid1(VALU_DEP_4)
	v_fmac_f32_e32 v0, 0xbf167918, v11
	;; [unrolled: 3-line block ×3, first 2 shown]
	v_mul_f32_e32 v15, 0xbf167918, v1
	s_delay_alu instid0(VALU_DEP_4) | instskip(NEXT) | instid1(VALU_DEP_4)
	v_fmac_f32_e32 v0, 0x3e9e377a, v7
	v_fmac_f32_e32 v9, 0x3e9e377a, v7
	s_delay_alu instid0(VALU_DEP_2) | instskip(NEXT) | instid1(VALU_DEP_4)
	v_mul_f32_e32 v14, 0x3f167918, v0
	v_fmac_f32_e32 v15, 0x3f4f1bbd, v0
	v_and_b32_e32 v0, 0xffff, v117
	s_delay_alu instid0(VALU_DEP_4) | instskip(NEXT) | instid1(VALU_DEP_4)
	v_mul_f32_e32 v5, 0xbf4f1bbd, v9
	v_dual_fmac_f32 v14, 0x3f4f1bbd, v1 :: v_dual_add_f32 v1, v123, v140
	s_delay_alu instid0(VALU_DEP_3) | instskip(SKIP_1) | instid1(VALU_DEP_4)
	v_mul_u32_u24_e32 v0, 0x5a, v0
	v_add_f32_e32 v3, v23, v15
	v_fmac_f32_e32 v5, 0xbf167918, v8
	s_delay_alu instid0(VALU_DEP_4) | instskip(NEXT) | instid1(VALU_DEP_4)
	v_add_f32_e32 v1, v1, v142
	v_add_lshl_u32 v240, v0, v118, 3
	s_delay_alu instid0(VALU_DEP_2) | instskip(NEXT) | instid1(VALU_DEP_1)
	v_dual_add_f32 v0, v54, v119 :: v_dual_add_f32 v1, v1, v144
	v_add_f32_e32 v0, v0, v120
	s_delay_alu instid0(VALU_DEP_2) | instskip(NEXT) | instid1(VALU_DEP_2)
	v_add_f32_e32 v26, v1, v146
	v_add_f32_e32 v0, v0, v121
	s_delay_alu instid0(VALU_DEP_1) | instskip(SKIP_1) | instid1(VALU_DEP_1)
	v_add_f32_e32 v16, v0, v122
	v_add_f32_e32 v0, v120, v121
	v_fma_f32 v17, -0.5, v0, v54
	s_delay_alu instid0(VALU_DEP_1) | instskip(NEXT) | instid1(VALU_DEP_1)
	v_dual_add_f32 v0, v55, v125 :: v_dual_fmamk_f32 v19, v18, 0x3f737871, v17
	v_add_f32_e32 v0, v0, v126
	v_fmac_f32_e32 v17, 0xbf737871, v18
	s_delay_alu instid0(VALU_DEP_3) | instskip(NEXT) | instid1(VALU_DEP_3)
	v_fmac_f32_e32 v19, 0x3f167918, v20
	v_add_f32_e32 v0, v0, v136
	s_delay_alu instid0(VALU_DEP_3) | instskip(NEXT) | instid1(VALU_DEP_3)
	v_fmac_f32_e32 v17, 0xbf167918, v20
	v_fmac_f32_e32 v19, 0x3e9e377a, v4
	s_delay_alu instid0(VALU_DEP_3) | instskip(NEXT) | instid1(VALU_DEP_3)
	v_add_f32_e32 v25, v0, v138
	v_dual_add_f32 v0, v16, v26 :: v_dual_fmac_f32 v17, 0x3e9e377a, v4
	v_mul_f32_e32 v4, 0xbf4f1bbd, v8
	s_delay_alu instid0(VALU_DEP_3) | instskip(NEXT) | instid1(VALU_DEP_2)
	v_dual_add_f32 v2, v19, v14 :: v_dual_add_f32 v1, v25, v27
	v_fmac_f32_e32 v4, 0x3f167918, v9
	ds_store_2addr_b64 v240, v[0:1], v[2:3] offset1:9
	v_add_f32_e32 v0, v125, v138
	v_dual_sub_f32 v1, v136, v138 :: v_dual_sub_f32 v2, v142, v140
	v_add_f32_e32 v3, v140, v146
	s_delay_alu instid0(VALU_DEP_3) | instskip(NEXT) | instid1(VALU_DEP_2)
	v_dual_fmac_f32 v55, -0.5, v0 :: v_dual_sub_f32 v0, v126, v125
	v_fmac_f32_e32 v123, -0.5, v3
	v_sub_f32_e32 v3, v120, v119
	s_delay_alu instid0(VALU_DEP_3) | instskip(NEXT) | instid1(VALU_DEP_4)
	v_fmamk_f32 v34, v24, 0x3f737871, v55
	v_dual_add_f32 v0, v0, v1 :: v_dual_add_f32 v1, v2, v28
	v_sub_f32_e32 v28, v121, v122
	v_dual_add_f32 v2, v29, v31 :: v_dual_add_f32 v29, v119, v122
	v_fmamk_f32 v30, v13, 0xbf737871, v123
	v_fmac_f32_e32 v123, 0x3f737871, v13
	s_delay_alu instid0(VALU_DEP_4)
	v_add_f32_e32 v3, v3, v28
	v_fmamk_f32 v28, v11, 0x3f737871, v124
	v_fmac_f32_e32 v124, 0xbf737871, v11
	v_fma_f32 v29, -0.5, v29, v54
	v_fmac_f32_e32 v123, 0xbf167918, v12
	v_fmac_f32_e32 v30, 0x3f167918, v12
	;; [unrolled: 1-line block ×4, first 2 shown]
	v_fmamk_f32 v33, v20, 0xbf737871, v29
	v_fmac_f32_e32 v123, 0x3e9e377a, v1
	v_fmac_f32_e32 v29, 0x3f737871, v20
	;; [unrolled: 1-line block ×6, first 2 shown]
	v_mul_f32_e32 v32, 0xbe9e377a, v123
	v_mul_f32_e32 v35, 0x3f737871, v28
	;; [unrolled: 1-line block ×3, first 2 shown]
	v_fmac_f32_e32 v29, 0xbf167918, v18
	v_fmac_f32_e32 v33, 0x3f167918, v18
	;; [unrolled: 1-line block ×5, first 2 shown]
	v_dual_mul_f32 v30, 0xbf737871, v30 :: v_dual_fmac_f32 v31, 0xbf737871, v123
	v_fmac_f32_e32 v32, 0x3f737871, v124
	v_fmac_f32_e32 v29, 0x3e9e377a, v3
	;; [unrolled: 1-line block ×6, first 2 shown]
	v_add_f32_e32 v0, v29, v32
	v_add_f32_e32 v2, v33, v35
	v_add_f32_e32 v1, v55, v31
	s_delay_alu instid0(VALU_DEP_4)
	v_dual_sub_f32 v10, v83, v116 :: v_dual_add_f32 v3, v34, v30
	v_sub_f32_e32 v11, v105, v113
	v_sub_f32_e32 v12, v81, v115
	;; [unrolled: 1-line block ×3, first 2 shown]
	v_add_f32_e32 v18, v82, v103
	ds_store_2addr_b64 v240, v[2:3], v[0:1] offset0:18 offset1:27
	v_dual_sub_f32 v0, v16, v26 :: v_dual_sub_f32 v1, v25, v27
	v_add_f32_e32 v2, v17, v4
	v_add_f32_e32 v3, v21, v5
	v_fma_f32 v18, -0.5, v18, v44
	v_sub_f32_e32 v20, v80, v114
	v_sub_f32_e32 v24, v82, v103
	ds_store_2addr_b64 v240, v[2:3], v[0:1] offset0:36 offset1:45
	v_sub_f32_e32 v0, v19, v14
	v_sub_f32_e32 v1, v23, v15
	v_dual_sub_f32 v2, v33, v35 :: v_dual_sub_f32 v3, v34, v30
	v_dual_sub_f32 v23, v71, v112 :: v_dual_fmamk_f32 v22, v20, 0x3f737871, v18
	v_add_f32_e32 v30, v81, v115
	v_fmac_f32_e32 v18, 0xbf737871, v20
	ds_store_2addr_b64 v240, v[0:1], v[2:3] offset0:54 offset1:63
	v_dual_sub_f32 v1, v55, v31 :: v_dual_sub_f32 v0, v29, v32
	v_sub_f32_e32 v2, v17, v4
	v_sub_f32_e32 v3, v21, v5
	v_add_f32_e32 v17, v59, v81
	v_sub_f32_e32 v21, v102, v106
	v_sub_f32_e32 v29, v104, v81
	;; [unrolled: 1-line block ×3, first 2 shown]
	ds_store_2addr_b64 v240, v[0:1], v[2:3] offset0:72 offset1:81
	v_dual_sub_f32 v0, v71, v82 :: v_dual_sub_f32 v1, v112, v103
	v_dual_add_f32 v2, v45, v80 :: v_dual_add_f32 v3, v58, v83
	v_dual_add_f32 v17, v17, v104 :: v_dual_fmac_f32 v22, 0x3f167918, v21
	s_delay_alu instid0(VALU_DEP_3) | instskip(SKIP_3) | instid1(VALU_DEP_4)
	v_add_f32_e32 v4, v0, v1
	v_sub_f32_e32 v0, v80, v102
	v_sub_f32_e32 v1, v114, v106
	v_dual_add_f32 v2, v2, v102 :: v_dual_add_f32 v3, v3, v105
	v_dual_add_f32 v17, v17, v107 :: v_dual_fmac_f32 v22, 0x3e9e377a, v4
	s_delay_alu instid0(VALU_DEP_3) | instskip(SKIP_1) | instid1(VALU_DEP_4)
	v_add_f32_e32 v5, v0, v1
	v_sub_f32_e32 v0, v83, v105
	v_dual_sub_f32 v1, v116, v113 :: v_dual_add_f32 v2, v2, v106
	v_add_f32_e32 v3, v3, v113
	v_dual_add_f32 v17, v17, v115 :: v_dual_fmac_f32 v18, 0xbf167918, v21
	s_delay_alu instid0(VALU_DEP_3) | instskip(SKIP_1) | instid1(VALU_DEP_4)
	v_add_f32_e32 v6, v0, v1
	v_dual_sub_f32 v0, v81, v104 :: v_dual_sub_f32 v1, v115, v107
	v_dual_add_f32 v26, v2, v114 :: v_dual_add_f32 v27, v3, v116
	s_delay_alu instid0(VALU_DEP_2) | instskip(SKIP_1) | instid1(VALU_DEP_1)
	v_dual_fmac_f32 v18, 0x3e9e377a, v4 :: v_dual_add_f32 v7, v0, v1
	v_add_f32_e32 v0, v105, v113
	v_fma_f32 v8, -0.5, v0, v58
	v_add_f32_e32 v0, v104, v107
	s_delay_alu instid0(VALU_DEP_2) | instskip(NEXT) | instid1(VALU_DEP_2)
	v_fmamk_f32 v1, v12, 0x3f737871, v8
	v_fma_f32 v9, -0.5, v0, v59
	v_dual_fmac_f32 v59, -0.5, v30 :: v_dual_fmac_f32 v8, 0xbf737871, v12
	s_delay_alu instid0(VALU_DEP_3) | instskip(NEXT) | instid1(VALU_DEP_3)
	v_fmac_f32_e32 v1, 0x3f167918, v13
	v_fmamk_f32 v0, v10, 0xbf737871, v9
	v_fmac_f32_e32 v9, 0x3f737871, v10
	s_delay_alu instid0(VALU_DEP_4) | instskip(NEXT) | instid1(VALU_DEP_4)
	v_fmac_f32_e32 v8, 0xbf167918, v13
	v_fmac_f32_e32 v1, 0x3e9e377a, v6
	s_delay_alu instid0(VALU_DEP_4) | instskip(NEXT) | instid1(VALU_DEP_4)
	v_fmac_f32_e32 v0, 0xbf167918, v11
	;; [unrolled: 3-line block ×3, first 2 shown]
	v_mul_f32_e32 v15, 0xbf167918, v1
	s_delay_alu instid0(VALU_DEP_4) | instskip(NEXT) | instid1(VALU_DEP_4)
	v_fmac_f32_e32 v0, 0x3e9e377a, v7
	v_fmac_f32_e32 v9, 0x3e9e377a, v7
	s_delay_alu instid0(VALU_DEP_4) | instskip(NEXT) | instid1(VALU_DEP_3)
	v_mul_f32_e32 v4, 0xbf4f1bbd, v8
	v_mul_f32_e32 v14, 0x3f167918, v0
	v_fmac_f32_e32 v15, 0x3f4f1bbd, v0
	v_mad_u16 v0, 0x5a, v100, v101
	s_delay_alu instid0(VALU_DEP_4) | instskip(NEXT) | instid1(VALU_DEP_4)
	v_fmac_f32_e32 v4, 0x3f167918, v9
	v_dual_fmac_f32 v14, 0x3f4f1bbd, v1 :: v_dual_add_f32 v1, v102, v106
	s_delay_alu instid0(VALU_DEP_3) | instskip(NEXT) | instid1(VALU_DEP_2)
	v_and_b32_e32 v28, 0xffff, v0
	v_add_f32_e32 v2, v22, v14
	s_delay_alu instid0(VALU_DEP_3) | instskip(SKIP_1) | instid1(VALU_DEP_4)
	v_fma_f32 v16, -0.5, v1, v45
	v_add_f32_e32 v1, v44, v71
	v_lshlrev_b32_e32 v255, 3, v28
	s_delay_alu instid0(VALU_DEP_3) | instskip(NEXT) | instid1(VALU_DEP_3)
	v_dual_sub_f32 v28, v113, v116 :: v_dual_fmamk_f32 v25, v23, 0xbf737871, v16
	v_dual_add_f32 v1, v1, v82 :: v_dual_fmac_f32 v16, 0x3f737871, v23
	s_delay_alu instid0(VALU_DEP_2) | instskip(NEXT) | instid1(VALU_DEP_2)
	v_fmac_f32_e32 v25, 0xbf167918, v24
	v_dual_add_f32 v1, v1, v103 :: v_dual_fmac_f32 v16, 0x3f167918, v24
	s_delay_alu instid0(VALU_DEP_2) | instskip(NEXT) | instid1(VALU_DEP_2)
	v_fmac_f32_e32 v25, 0x3e9e377a, v5
	v_add_f32_e32 v19, v1, v112
	v_add_f32_e32 v1, v26, v17
	s_delay_alu instid0(VALU_DEP_4) | instskip(SKIP_2) | instid1(VALU_DEP_2)
	v_fmac_f32_e32 v16, 0x3e9e377a, v5
	v_mul_f32_e32 v5, 0xbf4f1bbd, v9
	v_add_f32_e32 v3, v25, v15
	v_dual_add_f32 v0, v19, v27 :: v_dual_fmac_f32 v5, 0xbf167918, v8
	ds_store_2addr_b64 v255, v[0:1], v[2:3] offset1:9
	v_add_f32_e32 v0, v80, v114
	v_dual_sub_f32 v1, v106, v114 :: v_dual_sub_f32 v2, v105, v83
	v_add_f32_e32 v3, v83, v116
	v_mov_b32_e32 v83, v169
	s_delay_alu instid0(VALU_DEP_4) | instskip(SKIP_1) | instid1(VALU_DEP_4)
	v_fmac_f32_e32 v45, -0.5, v0
	v_sub_f32_e32 v0, v102, v80
	v_fmac_f32_e32 v58, -0.5, v3
	s_delay_alu instid0(VALU_DEP_3) | instskip(NEXT) | instid1(VALU_DEP_3)
	v_dual_sub_f32 v3, v82, v71 :: v_dual_fmamk_f32 v34, v24, 0x3f737871, v45
	v_dual_add_f32 v0, v0, v1 :: v_dual_add_f32 v1, v2, v28
	v_sub_f32_e32 v28, v103, v112
	v_dual_add_f32 v2, v29, v31 :: v_dual_add_f32 v29, v71, v112
	v_fmamk_f32 v30, v13, 0xbf737871, v58
	s_delay_alu instid0(VALU_DEP_3) | instskip(SKIP_3) | instid1(VALU_DEP_4)
	v_dual_fmac_f32 v58, 0x3f737871, v13 :: v_dual_add_f32 v3, v3, v28
	v_fmamk_f32 v28, v11, 0x3f737871, v59
	v_fmac_f32_e32 v59, 0xbf737871, v11
	v_fma_f32 v29, -0.5, v29, v44
	v_fmac_f32_e32 v58, 0xbf167918, v12
	v_fmac_f32_e32 v30, 0x3f167918, v12
	;; [unrolled: 1-line block ×4, first 2 shown]
	v_fmamk_f32 v33, v21, 0xbf737871, v29
	v_fmac_f32_e32 v58, 0x3e9e377a, v1
	v_fmac_f32_e32 v29, 0x3f737871, v21
	;; [unrolled: 1-line block ×6, first 2 shown]
	v_mul_f32_e32 v32, 0xbe9e377a, v58
	v_mul_f32_e32 v35, 0x3f737871, v28
	;; [unrolled: 1-line block ×3, first 2 shown]
	v_fmac_f32_e32 v29, 0xbf167918, v20
	v_fmac_f32_e32 v33, 0x3f167918, v20
	;; [unrolled: 1-line block ×5, first 2 shown]
	v_mul_f32_e32 v30, 0xbf737871, v30
	v_fmac_f32_e32 v31, 0xbf737871, v58
	v_fmac_f32_e32 v32, 0x3f737871, v59
	;; [unrolled: 1-line block ×7, first 2 shown]
	v_add_f32_e32 v0, v29, v32
	v_add_f32_e32 v2, v33, v35
	v_dual_add_f32 v1, v45, v31 :: v_dual_mov_b32 v82, v164
	s_delay_alu instid0(VALU_DEP_4)
	v_add_f32_e32 v3, v34, v30
	ds_store_2addr_b64 v255, v[2:3], v[0:1] offset0:18 offset1:27
	v_dual_sub_f32 v0, v19, v27 :: v_dual_sub_f32 v1, v26, v17
	v_dual_add_f32 v2, v18, v4 :: v_dual_add_f32 v3, v16, v5
	ds_store_2addr_b64 v255, v[2:3], v[0:1] offset0:36 offset1:45
	v_dual_sub_f32 v0, v22, v14 :: v_dual_sub_f32 v1, v25, v15
	v_dual_sub_f32 v2, v33, v35 :: v_dual_sub_f32 v3, v34, v30
	ds_store_2addr_b64 v255, v[0:1], v[2:3] offset0:54 offset1:63
	v_sub_f32_e32 v1, v45, v31
	v_sub_f32_e32 v0, v29, v32
	v_dual_sub_f32 v2, v18, v4 :: v_dual_sub_f32 v3, v16, v5
	ds_store_2addr_b64 v255, v[0:1], v[2:3] offset0:72 offset1:81
	v_mul_lo_u16 v0, 0xb7, v57
	v_add_nc_u32_e32 v1, 0xffffffa6, v161
	s_delay_alu instid0(VALU_DEP_2) | instskip(NEXT) | instid1(VALU_DEP_2)
	v_lshrrev_b16 v71, 14, v0
	v_cndmask_b32_e32 v117, v1, v161, vcc_lo
	s_delay_alu instid0(VALU_DEP_2) | instskip(NEXT) | instid1(VALU_DEP_2)
	v_mul_lo_u16 v0, 0x5a, v71
	v_mul_i32_i24_e32 v1, 40, v117
	v_mul_hi_i32_i24_e32 v2, 40, v117
	s_delay_alu instid0(VALU_DEP_3) | instskip(NEXT) | instid1(VALU_DEP_3)
	v_sub_nc_u16 v0, v56, v0
	v_add_co_u32 v4, vcc_lo, s10, v1
	v_mov_b32_e32 v56, v161
	s_delay_alu instid0(VALU_DEP_4) | instskip(NEXT) | instid1(VALU_DEP_4)
	v_add_co_ci_u32_e32 v5, vcc_lo, s11, v2, vcc_lo
	v_and_b32_e32 v116, 0xff, v0
	s_clause 0x1
	scratch_store_b32 off, v38, off offset:456
	scratch_store_b32 off, v56, off offset:248
	s_waitcnt lgkmcnt(0)
	s_waitcnt_vscnt null, 0x0
	s_barrier
	buffer_gl0_inv
	s_clause 0x2
	global_load_b128 v[241:244], v[4:5], off offset:696
	global_load_b128 v[247:250], v[4:5], off offset:712
	global_load_b64 v[45:46], v[4:5], off offset:728
	v_mad_u64_u32 v[4:5], null, v116, 40, s[10:11]
	ds_load_2addr_b64 v[0:3], v163 offset0:56 offset1:164
	v_cmp_lt_u16_e32 vcc_lo, 0x59, v60
	global_load_b128 v[183:186], v[4:5], off offset:696
	s_waitcnt vmcnt(3) lgkmcnt(0)
	v_mul_f32_e32 v6, v1, v244
	v_mul_f32_e32 v31, v0, v244
	s_delay_alu instid0(VALU_DEP_2) | instskip(SKIP_1) | instid1(VALU_DEP_2)
	v_fma_f32 v30, v0, v243, -v6
	s_waitcnt vmcnt(0)
	v_dual_fmac_f32 v31, v1, v243 :: v_dual_mul_f32 v0, v3, v186
	v_mul_f32_e32 v140, v2, v186
	s_delay_alu instid0(VALU_DEP_2) | instskip(NEXT) | instid1(VALU_DEP_2)
	v_fma_f32 v23, v2, v185, -v0
	v_fmac_f32_e32 v140, v3, v185
	ds_load_2addr_b64 v[0:3], v162 offset0:112 offset1:220
	s_clause 0x1
	global_load_b64 v[10:11], v[4:5], off offset:728
	global_load_b128 v[104:107], v[4:5], off offset:712
	s_waitcnt lgkmcnt(0)
	v_mul_f32_e32 v6, v1, v250
	v_mul_f32_e32 v33, v0, v250
	s_delay_alu instid0(VALU_DEP_2) | instskip(SKIP_1) | instid1(VALU_DEP_2)
	v_fma_f32 v32, v0, v249, -v6
	s_waitcnt vmcnt(0)
	v_dual_fmac_f32 v33, v1, v249 :: v_dual_mul_f32 v0, v3, v107
	v_mul_f32_e32 v34, v2, v107
	s_delay_alu instid0(VALU_DEP_2) | instskip(SKIP_1) | instid1(VALU_DEP_3)
	v_fma_f32 v27, v2, v106, -v0
	v_mul_u32_u24_e32 v0, 0x2d83, v70
	v_fmac_f32_e32 v34, v3, v106
	s_delay_alu instid0(VALU_DEP_2) | instskip(NEXT) | instid1(VALU_DEP_1)
	v_lshrrev_b32_e32 v9, 20, v0
	v_mul_lo_u16 v0, 0x5a, v9
	s_delay_alu instid0(VALU_DEP_1) | instskip(NEXT) | instid1(VALU_DEP_1)
	v_sub_nc_u16 v118, v63, v0
	v_mul_lo_u16 v0, v118, 40
	v_mad_u16 v9, 0x21c, v9, v118
	s_delay_alu instid0(VALU_DEP_2) | instskip(NEXT) | instid1(VALU_DEP_2)
	v_and_b32_e32 v0, 0xffff, v0
	v_and_b32_e32 v9, 0xffff, v9
	s_delay_alu instid0(VALU_DEP_2) | instskip(NEXT) | instid1(VALU_DEP_1)
	v_add_co_u32 v4, s2, s10, v0
	v_add_co_ci_u32_e64 v5, null, s11, 0, s2
	ds_load_2addr_b64 v[0:3], v66 offset0:136 offset1:244
	s_clause 0x1
	global_load_b128 v[100:103], v[4:5], off offset:696
	global_load_b128 v[120:123], v[4:5], off offset:712
	s_waitcnt lgkmcnt(0)
	v_dual_mul_f32 v6, v1, v184 :: v_dual_lshlrev_b32 v9, 3, v9
	v_mul_f32_e32 v127, v0, v184
	s_delay_alu instid0(VALU_DEP_2) | instskip(SKIP_1) | instid1(VALU_DEP_2)
	v_fma_f32 v19, v0, v183, -v6
	s_waitcnt vmcnt(1)
	v_dual_fmac_f32 v127, v1, v183 :: v_dual_mul_f32 v0, v3, v101
	v_mul_f32_e32 v70, v2, v101
	s_delay_alu instid0(VALU_DEP_2) | instskip(NEXT) | instid1(VALU_DEP_2)
	v_fma_f32 v6, v2, v100, -v0
	v_fmac_f32_e32 v70, v3, v100
	ds_load_2addr_b64 v[0:3], v165 offset0:64 offset1:172
	s_waitcnt lgkmcnt(0)
	v_mul_f32_e32 v7, v1, v105
	v_mul_f32_e32 v36, v0, v105
	s_waitcnt vmcnt(0)
	v_mul_f32_e32 v13, v2, v121
	s_delay_alu instid0(VALU_DEP_3) | instskip(SKIP_2) | instid1(VALU_DEP_4)
	v_fma_f32 v35, v0, v104, -v7
	v_mul_f32_e32 v0, v3, v121
	v_fmac_f32_e32 v36, v1, v104
	v_fmac_f32_e32 v13, v3, v120
	global_load_b64 v[7:8], v[4:5], off offset:728
	scratch_store_b64 off, v[10:11], off offset:500 ; 8-byte Folded Spill
	v_fma_f32 v14, v2, v120, -v0
	v_mul_u32_u24_e32 v0, 0x2d83, v68
	s_delay_alu instid0(VALU_DEP_1) | instskip(NEXT) | instid1(VALU_DEP_1)
	v_lshrrev_b32_e32 v63, 20, v0
	v_mul_lo_u16 v0, 0x5a, v63
	s_delay_alu instid0(VALU_DEP_1) | instskip(NEXT) | instid1(VALU_DEP_1)
	v_sub_nc_u16 v68, v62, v0
	v_mul_lo_u16 v0, v68, 40
	s_delay_alu instid0(VALU_DEP_1)
	v_and_b32_e32 v4, 0xffff, v0
	ds_load_2addr_b64 v[0:3], v164 offset0:120 offset1:228
	v_add_co_u32 v4, s2, s10, v4
	s_waitcnt lgkmcnt(0)
	v_mul_f32_e32 v5, v1, v11
	v_mul_f32_e32 v38, v0, v11
	s_delay_alu instid0(VALU_DEP_2) | instskip(SKIP_1) | instid1(VALU_DEP_3)
	v_fma_f32 v37, v0, v10, -v5
	v_add_co_ci_u32_e64 v5, null, s11, 0, s2
	v_fmac_f32_e32 v38, v1, v10
	global_load_b128 v[112:115], v[4:5], off offset:696
	s_waitcnt vmcnt(1)
	v_mul_f32_e32 v0, v3, v8
	v_mul_f32_e32 v18, v2, v8
	scratch_store_b64 off, v[7:8], off offset:476 ; 8-byte Folded Spill
	v_fma_f32 v126, v2, v7, -v0
	v_fmac_f32_e32 v18, v3, v7
	ds_load_2addr_b64 v[0:3], v168 offset0:16 offset1:124
	s_waitcnt lgkmcnt(0)
	v_mul_f32_e32 v7, v1, v103
	v_mul_f32_e32 v24, v0, v103
	s_delay_alu instid0(VALU_DEP_2) | instskip(NEXT) | instid1(VALU_DEP_2)
	v_fma_f32 v21, v0, v102, -v7
	v_fmac_f32_e32 v24, v1, v102
	s_waitcnt vmcnt(0)
	v_mul_f32_e32 v0, v3, v115
	v_mul_f32_e32 v125, v2, v115
	s_delay_alu instid0(VALU_DEP_2) | instskip(NEXT) | instid1(VALU_DEP_2)
	v_fma_f32 v10, v2, v114, -v0
	v_fmac_f32_e32 v125, v3, v114
	ds_load_2addr_b64 v[0:3], v167 offset0:72 offset1:180
	s_clause 0x1
	global_load_b64 v[43:44], v[4:5], off offset:728
	global_load_b128 v[152:155], v[4:5], off offset:712
	ds_load_2addr_b64 v[52:55], v166 offset0:96 offset1:204
	s_waitcnt lgkmcnt(1)
	v_mul_f32_e32 v7, v1, v123
	v_mul_f32_e32 v26, v0, v123
	s_waitcnt lgkmcnt(0)
	v_mul_f32_e32 v8, v52, v113
	s_delay_alu instid0(VALU_DEP_3) | instskip(NEXT) | instid1(VALU_DEP_3)
	v_fma_f32 v25, v0, v122, -v7
	v_fmac_f32_e32 v26, v1, v122
	v_mul_f32_e32 v1, v53, v113
	s_delay_alu instid0(VALU_DEP_4) | instskip(NEXT) | instid1(VALU_DEP_2)
	v_fmac_f32_e32 v8, v53, v112
	v_fma_f32 v7, v52, v112, -v1
	s_waitcnt vmcnt(0)
	v_mul_f32_e32 v0, v3, v155
	v_mul_f32_e32 v15, v2, v155
	s_delay_alu instid0(VALU_DEP_2) | instskip(SKIP_1) | instid1(VALU_DEP_3)
	v_fma_f32 v12, v2, v154, -v0
	v_mul_u32_u24_e32 v0, 0x2d83, v69
	v_fmac_f32_e32 v15, v3, v154
	s_delay_alu instid0(VALU_DEP_2) | instskip(NEXT) | instid1(VALU_DEP_1)
	v_lshrrev_b32_e32 v3, 20, v0
	v_mul_lo_u16 v0, 0x5a, v3
	s_delay_alu instid0(VALU_DEP_1) | instskip(NEXT) | instid1(VALU_DEP_1)
	v_sub_nc_u16 v62, v61, v0
	v_mul_lo_u16 v0, v62, 40
	v_mad_u16 v3, 0x21c, v3, v62
	s_delay_alu instid0(VALU_DEP_2) | instskip(NEXT) | instid1(VALU_DEP_1)
	v_and_b32_e32 v0, 0xffff, v0
	v_add_co_u32 v28, s2, s10, v0
	s_delay_alu instid0(VALU_DEP_1)
	v_add_co_ci_u32_e64 v29, null, s11, 0, s2
	s_clause 0x2
	global_load_b128 v[136:139], v[28:29], off offset:696
	global_load_b128 v[160:163], v[28:29], off offset:712
	global_load_b64 v[28:29], v[28:29], off offset:728
	scratch_store_b64 off, v[43:44], off offset:508 ; 8-byte Folded Spill
	ds_load_2addr_b64 v[141:144], v178 offset1:108
	ds_load_2addr_b64 v[145:148], v224 offset0:88 offset1:196
	s_mul_i32 s2, s5, 0x21c0
	s_delay_alu instid0(SALU_CYCLE_1) | instskip(SKIP_3) | instid1(VALU_DEP_1)
	s_add_i32 s2, s3, s2
	s_mul_i32 s3, s4, 0x21c0
	s_waitcnt vmcnt(2)
	v_mul_f32_e32 v0, v55, v137
	v_fma_f32 v61, v54, v136, -v0
	v_mul_f32_e32 v0, v54, v137
	s_delay_alu instid0(VALU_DEP_1) | instskip(SKIP_4) | instid1(VALU_DEP_2)
	v_fmac_f32_e32 v0, v55, v136
	ds_load_2addr_b64 v[52:55], v169 offset0:104 offset1:212
	s_waitcnt lgkmcnt(0)
	v_mul_f32_e32 v1, v55, v248
	v_dual_mul_f32 v40, v54, v248 :: v_dual_mul_f32 v5, v52, v139
	v_fma_f32 v39, v54, v247, -v1
	v_mul_f32_e32 v1, v53, v139
	s_delay_alu instid0(VALU_DEP_3) | instskip(NEXT) | instid1(VALU_DEP_2)
	v_dual_fmac_f32 v40, v55, v247 :: v_dual_fmac_f32 v5, v53, v138
	v_fma_f32 v1, v52, v138, -v1
	ds_load_2addr_b64 v[52:55], v195 offset0:24 offset1:132
	s_waitcnt lgkmcnt(0)
	v_mul_f32_e32 v2, v53, v153
	v_mul_f32_e32 v16, v52, v153
	s_delay_alu instid0(VALU_DEP_2) | instskip(SKIP_2) | instid1(VALU_DEP_3)
	v_fma_f32 v17, v52, v152, -v2
	s_waitcnt vmcnt(1)
	v_mul_f32_e32 v2, v55, v161
	v_fmac_f32_e32 v16, v53, v152
	s_delay_alu instid0(VALU_DEP_2) | instskip(SKIP_1) | instid1(VALU_DEP_1)
	v_fma_f32 v4, v54, v160, -v2
	v_mul_f32_e32 v2, v54, v161
	v_fmac_f32_e32 v2, v55, v160
	ds_load_2addr_b64 v[52:55], v170 offset0:32 offset1:140
	s_waitcnt lgkmcnt(0)
	v_mul_f32_e32 v11, v55, v46
	v_mul_f32_e32 v42, v54, v46
	;; [unrolled: 1-line block ×3, first 2 shown]
	s_delay_alu instid0(VALU_DEP_3) | instskip(NEXT) | instid1(VALU_DEP_3)
	v_fma_f32 v41, v54, v45, -v11
	v_dual_mul_f32 v11, v53, v163 :: v_dual_fmac_f32 v42, v55, v45
	s_delay_alu instid0(VALU_DEP_2) | instskip(NEXT) | instid1(VALU_DEP_2)
	v_dual_fmac_f32 v124, v53, v162 :: v_dual_add_f32 v47, v39, v41
	v_fma_f32 v11, v52, v162, -v11
	ds_load_2addr_b64 v[52:55], v171 offset0:80 offset1:188
	s_waitcnt lgkmcnt(0)
	v_mul_f32_e32 v20, v53, v44
	s_delay_alu instid0(VALU_DEP_1) | instskip(SKIP_1) | instid1(VALU_DEP_1)
	v_fma_f32 v22, v52, v43, -v20
	v_mul_f32_e32 v20, v52, v44
	v_fmac_f32_e32 v20, v53, v43
	s_waitcnt vmcnt(0)
	v_dual_mov_b32 v44, v29 :: v_dual_mov_b32 v43, v28
	scratch_store_b64 off, v[45:46], off offset:460 ; 8-byte Folded Spill
	v_dual_add_f32 v29, v141, v30 :: v_dual_mul_f32 v28, v55, v44
	v_mul_f32_e32 v69, v54, v44
	scratch_store_b64 off, v[43:44], off offset:484 ; 8-byte Folded Spill
	v_sub_f32_e32 v44, v31, v33
	v_fma_f32 v119, v54, v43, -v28
	v_fmac_f32_e32 v69, v55, v43
	ds_load_2addr_b64 v[52:55], v225 offset0:48 offset1:156
	v_add_f32_e32 v28, v142, v31
	s_delay_alu instid0(VALU_DEP_1) | instskip(SKIP_4) | instid1(VALU_DEP_4)
	v_add_f32_e32 v43, v28, v33
	v_dual_add_f32 v28, v31, v33 :: v_dual_add_f32 v33, v29, v32
	v_add_f32_e32 v29, v30, v32
	v_sub_f32_e32 v32, v30, v32
	v_add_f32_e32 v30, v40, v42
	v_fma_f32 v50, -0.5, v28, v142
	s_delay_alu instid0(VALU_DEP_4) | instskip(NEXT) | instid1(VALU_DEP_1)
	v_fma_f32 v49, -0.5, v29, v141
	v_fmamk_f32 v51, v44, 0x3f5db3d7, v49
	s_waitcnt lgkmcnt(0)
	v_mul_f32_e32 v45, v54, v242
	v_fmac_f32_e32 v49, 0xbf5db3d7, v44
	s_delay_alu instid0(VALU_DEP_2) | instskip(NEXT) | instid1(VALU_DEP_1)
	v_fmac_f32_e32 v45, v55, v241
	v_add_f32_e32 v31, v45, v40
	v_fmac_f32_e32 v45, -0.5, v30
	v_mul_f32_e32 v30, v55, v242
	v_sub_f32_e32 v40, v40, v42
	s_delay_alu instid0(VALU_DEP_4) | instskip(NEXT) | instid1(VALU_DEP_3)
	v_add_f32_e32 v42, v31, v42
	v_fma_f32 v46, v54, v241, -v30
	v_fmamk_f32 v54, v32, 0xbf5db3d7, v50
	s_delay_alu instid0(VALU_DEP_3) | instskip(NEXT) | instid1(VALU_DEP_3)
	v_dual_fmac_f32 v50, 0x3f5db3d7, v32 :: v_dual_add_f32 v29, v43, v42
	v_dual_add_f32 v30, v46, v39 :: v_dual_sub_f32 v39, v39, v41
	s_delay_alu instid0(VALU_DEP_1) | instskip(NEXT) | instid1(VALU_DEP_2)
	v_dual_fmac_f32 v46, -0.5, v47 :: v_dual_add_f32 v41, v30, v41
	v_fmamk_f32 v30, v39, 0xbf5db3d7, v45
	s_delay_alu instid0(VALU_DEP_2) | instskip(SKIP_1) | instid1(VALU_DEP_4)
	v_fmamk_f32 v31, v40, 0x3f5db3d7, v46
	v_fmac_f32_e32 v46, 0xbf5db3d7, v40
	v_dual_fmac_f32 v45, 0x3f5db3d7, v39 :: v_dual_add_f32 v28, v33, v41
	s_delay_alu instid0(VALU_DEP_4) | instskip(NEXT) | instid1(VALU_DEP_4)
	v_mul_f32_e32 v47, 0x3f5db3d7, v30
	v_mul_f32_e32 v48, 0xbf5db3d7, v31
	s_delay_alu instid0(VALU_DEP_2) | instskip(NEXT) | instid1(VALU_DEP_2)
	v_dual_mul_f32 v32, -0.5, v46 :: v_dual_fmac_f32 v47, 0.5, v31
	v_fmac_f32_e32 v48, 0.5, v30
	v_cndmask_b32_e64 v30, 0, 0x21c, vcc_lo
	s_delay_alu instid0(VALU_DEP_2) | instskip(NEXT) | instid1(VALU_DEP_2)
	v_dual_fmac_f32 v32, 0x3f5db3d7, v45 :: v_dual_add_f32 v31, v54, v48
	v_add_lshl_u32 v55, v117, v30, 3
	v_add_f32_e32 v30, v51, v47
	scratch_store_b32 off, v55, off offset:420 ; 4-byte Folded Spill
	s_waitcnt_vscnt null, 0x0
	s_barrier
	buffer_gl0_inv
	ds_store_2addr_b64 v55, v[28:29], v[30:31] offset1:90
	v_sub_f32_e32 v28, v33, v41
	v_mul_f32_e32 v33, -0.5, v45
	v_dual_sub_f32 v29, v43, v42 :: v_dual_add_f32 v30, v49, v32
	v_add_nc_u32_e32 v39, 0x400, v55
	s_delay_alu instid0(VALU_DEP_3) | instskip(NEXT) | instid1(VALU_DEP_1)
	v_fmac_f32_e32 v33, 0xbf5db3d7, v46
	v_add_f32_e32 v31, v50, v33
	ds_store_2addr_b64 v39, v[30:31], v[28:29] offset0:52 offset1:142
	v_dual_sub_f32 v28, v51, v47 :: v_dual_sub_f32 v29, v54, v48
	v_dual_sub_f32 v30, v49, v32 :: v_dual_sub_f32 v31, v50, v33
	v_add_nc_u32_e32 v32, 0x800, v55
	s_clause 0x1
	scratch_store_b32 off, v39, off offset:380
	scratch_store_b32 off, v32, off offset:392
	ds_store_2addr_b64 v32, v[28:29], v[30:31] offset0:104 offset1:194
	v_add_f32_e32 v28, v144, v140
	v_dual_add_f32 v29, v140, v34 :: v_dual_add_f32 v30, v35, v37
	v_sub_f32_e32 v31, v140, v34
	s_delay_alu instid0(VALU_DEP_3) | instskip(SKIP_1) | instid1(VALU_DEP_4)
	v_add_f32_e32 v32, v28, v34
	v_add_f32_e32 v28, v143, v23
	v_dual_fmac_f32 v144, -0.5, v29 :: v_dual_add_f32 v29, v127, v36
	s_delay_alu instid0(VALU_DEP_2) | instskip(SKIP_4) | instid1(VALU_DEP_4)
	v_dual_sub_f32 v34, v35, v37 :: v_dual_add_f32 v33, v28, v27
	v_add_f32_e32 v28, v23, v27
	v_sub_f32_e32 v23, v23, v27
	v_add_f32_e32 v27, v36, v38
	v_sub_f32_e32 v36, v36, v38
	v_fma_f32 v40, -0.5, v28, v143
	s_delay_alu instid0(VALU_DEP_3) | instskip(SKIP_2) | instid1(VALU_DEP_4)
	v_dual_fmamk_f32 v42, v23, 0xbf5db3d7, v144 :: v_dual_fmac_f32 v127, -0.5, v27
	v_add_f32_e32 v27, v19, v35
	v_fmac_f32_e32 v19, -0.5, v30
	v_fmamk_f32 v41, v31, 0x3f5db3d7, v40
	v_fmac_f32_e32 v40, 0xbf5db3d7, v31
	s_delay_alu instid0(VALU_DEP_4) | instskip(SKIP_4) | instid1(VALU_DEP_4)
	v_dual_fmac_f32 v144, 0x3f5db3d7, v23 :: v_dual_add_f32 v35, v27, v37
	v_add_f32_e32 v37, v29, v38
	v_fmamk_f32 v29, v36, 0x3f5db3d7, v19
	v_fmamk_f32 v27, v34, 0xbf5db3d7, v127
	v_fmac_f32_e32 v19, 0xbf5db3d7, v36
	v_dual_fmac_f32 v127, 0x3f5db3d7, v34 :: v_dual_add_f32 v28, v32, v37
	s_delay_alu instid0(VALU_DEP_4) | instskip(NEXT) | instid1(VALU_DEP_4)
	v_mul_f32_e32 v39, 0xbf5db3d7, v29
	v_mul_f32_e32 v38, 0x3f5db3d7, v27
	s_delay_alu instid0(VALU_DEP_4) | instskip(NEXT) | instid1(VALU_DEP_4)
	v_mul_f32_e32 v23, -0.5, v19
	v_dual_mul_f32 v31, -0.5, v127 :: v_dual_mov_b32 v36, v9
	s_delay_alu instid0(VALU_DEP_4) | instskip(NEXT) | instid1(VALU_DEP_4)
	v_fmac_f32_e32 v39, 0.5, v27
	v_dual_fmac_f32 v38, 0.5, v29 :: v_dual_and_b32 v27, 0xffff, v71
	s_delay_alu instid0(VALU_DEP_4) | instskip(NEXT) | instid1(VALU_DEP_4)
	v_fmac_f32_e32 v23, 0x3f5db3d7, v127
	v_fmac_f32_e32 v31, 0xbf5db3d7, v19
	s_delay_alu instid0(VALU_DEP_4) | instskip(NEXT) | instid1(VALU_DEP_4)
	v_add_f32_e32 v30, v42, v39
	v_mul_u32_u24_e32 v27, 0x21c, v27
	v_add_f32_e32 v29, v41, v38
	scratch_store_b32 off, v36, off offset:428 ; 4-byte Folded Spill
	v_add_lshl_u32 v43, v27, v116, 3
	v_add_f32_e32 v27, v33, v35
	s_delay_alu instid0(VALU_DEP_2)
	v_add_nc_u32_e32 v19, 0x400, v43
	ds_store_2addr_b64 v43, v[27:28], v[29:30] offset1:90
	v_dual_sub_f32 v27, v33, v35 :: v_dual_sub_f32 v28, v32, v37
	v_add_f32_e32 v29, v40, v23
	v_add_f32_e32 v30, v144, v31
	s_clause 0x1
	scratch_store_b32 off, v43, off offset:424
	scratch_store_b32 off, v19, off offset:384
	ds_store_2addr_b64 v19, v[29:30], v[27:28] offset0:52 offset1:142
	v_sub_f32_e32 v28, v144, v31
	v_sub_f32_e32 v27, v40, v23
	v_dual_sub_f32 v29, v41, v38 :: v_dual_sub_f32 v30, v42, v39
	v_add_nc_u32_e32 v19, 0x800, v43
	scratch_store_b32 off, v19, off offset:388 ; 4-byte Folded Spill
	ds_store_2addr_b64 v19, v[29:30], v[27:28] offset0:104 offset1:194
	v_add_f32_e32 v19, v146, v24
	v_sub_f32_e32 v27, v24, v26
	v_add_f32_e32 v29, v14, v126
	v_add_f32_e32 v28, v70, v13
	v_sub_f32_e32 v30, v14, v126
	v_add_f32_e32 v23, v19, v26
	v_dual_add_f32 v19, v24, v26 :: v_dual_add_f32 v24, v145, v21
	v_add_f32_e32 v26, v21, v25
	v_dual_sub_f32 v21, v21, v25 :: v_dual_add_f32 v28, v28, v18
	s_delay_alu instid0(VALU_DEP_3) | instskip(NEXT) | instid1(VALU_DEP_4)
	v_fma_f32 v33, -0.5, v19, v146
	v_dual_add_f32 v24, v24, v25 :: v_dual_add_f32 v25, v13, v18
	s_delay_alu instid0(VALU_DEP_4) | instskip(NEXT) | instid1(VALU_DEP_3)
	v_fma_f32 v26, -0.5, v26, v145
	v_fmamk_f32 v35, v21, 0xbf5db3d7, v33
	v_fmac_f32_e32 v33, 0x3f5db3d7, v21
	s_delay_alu instid0(VALU_DEP_4) | instskip(SKIP_2) | instid1(VALU_DEP_3)
	v_dual_fmac_f32 v70, -0.5, v25 :: v_dual_add_f32 v25, v6, v14
	v_dual_fmac_f32 v6, -0.5, v29 :: v_dual_sub_f32 v29, v13, v18
	v_fmamk_f32 v34, v27, 0x3f5db3d7, v26
	v_fmamk_f32 v13, v30, 0xbf5db3d7, v70
	s_delay_alu instid0(VALU_DEP_4) | instskip(SKIP_4) | instid1(VALU_DEP_4)
	v_add_f32_e32 v25, v25, v126
	v_fmac_f32_e32 v70, 0x3f5db3d7, v30
	v_fmamk_f32 v14, v29, 0x3f5db3d7, v6
	v_fmac_f32_e32 v6, 0xbf5db3d7, v29
	v_mul_f32_e32 v31, 0x3f5db3d7, v13
	v_dual_fmac_f32 v26, 0xbf5db3d7, v27 :: v_dual_mul_f32 v21, -0.5, v70
	s_delay_alu instid0(VALU_DEP_4) | instskip(SKIP_1) | instid1(VALU_DEP_4)
	v_mul_f32_e32 v32, 0xbf5db3d7, v14
	v_mad_u64_u32 v[29:30], null, v56, 40, s[10:11]
	v_dual_fmac_f32 v31, 0.5, v14 :: v_dual_add_f32 v14, v23, v28
	s_delay_alu instid0(VALU_DEP_3) | instskip(SKIP_1) | instid1(VALU_DEP_3)
	v_fmac_f32_e32 v32, 0.5, v13
	v_add_f32_e32 v13, v24, v25
	v_dual_fmac_f32 v21, 0xbf5db3d7, v6 :: v_dual_add_f32 v18, v34, v31
	s_delay_alu instid0(VALU_DEP_3) | instskip(SKIP_4) | instid1(VALU_DEP_3)
	v_add_f32_e32 v19, v35, v32
	ds_store_2addr_b64 v9, v[13:14], v[18:19] offset1:90
	v_mul_f32_e32 v9, -0.5, v6
	v_dual_sub_f32 v13, v24, v25 :: v_dual_sub_f32 v14, v23, v28
	v_dual_add_f32 v19, v33, v21 :: v_dual_add_nc_u32 v6, 0x400, v36
	v_fmac_f32_e32 v9, 0x3f5db3d7, v70
	scratch_store_b32 off, v6, off offset:396 ; 4-byte Folded Spill
	v_add_f32_e32 v18, v26, v9
	ds_store_2addr_b64 v6, v[18:19], v[13:14] offset0:52 offset1:142
	v_dual_sub_f32 v13, v34, v31 :: v_dual_sub_f32 v14, v35, v32
	v_sub_f32_e32 v18, v26, v9
	v_dual_sub_f32 v19, v33, v21 :: v_dual_add_nc_u32 v6, 0x800, v36
	v_add_f32_e32 v9, v125, v15
	scratch_store_b32 off, v6, off offset:400 ; 4-byte Folded Spill
	ds_store_2addr_b64 v6, v[13:14], v[18:19] offset0:104 offset1:194
	v_add_f32_e32 v6, v148, v125
	v_dual_fmac_f32 v148, -0.5, v9 :: v_dual_add_f32 v9, v147, v10
	v_sub_f32_e32 v14, v125, v15
	v_sub_f32_e32 v18, v10, v12
	s_delay_alu instid0(VALU_DEP_4) | instskip(NEXT) | instid1(VALU_DEP_4)
	v_dual_add_f32 v6, v6, v15 :: v_dual_add_f32 v13, v17, v22
	v_add_f32_e32 v15, v9, v12
	v_add_f32_e32 v9, v10, v12
	;; [unrolled: 1-line block ×4, first 2 shown]
	v_sub_f32_e32 v16, v16, v20
	v_fmamk_f32 v26, v18, 0xbf5db3d7, v148
	v_fma_f32 v23, -0.5, v9, v147
	v_fmac_f32_e32 v8, -0.5, v10
	v_dual_add_f32 v10, v7, v17 :: v_dual_sub_f32 v17, v17, v22
	v_dual_fmac_f32 v7, -0.5, v13 :: v_dual_add_f32 v20, v12, v20
	s_delay_alu instid0(VALU_DEP_4) | instskip(NEXT) | instid1(VALU_DEP_3)
	v_fmamk_f32 v25, v14, 0x3f5db3d7, v23
	v_dual_add_f32 v19, v10, v22 :: v_dual_fmamk_f32 v10, v17, 0xbf5db3d7, v8
	s_delay_alu instid0(VALU_DEP_3) | instskip(SKIP_1) | instid1(VALU_DEP_3)
	v_fmamk_f32 v12, v16, 0x3f5db3d7, v7
	v_fmac_f32_e32 v7, 0xbf5db3d7, v16
	v_dual_fmac_f32 v8, 0x3f5db3d7, v17 :: v_dual_add_f32 v9, v15, v19
	s_delay_alu instid0(VALU_DEP_4) | instskip(NEXT) | instid1(VALU_DEP_4)
	v_mul_f32_e32 v21, 0x3f5db3d7, v10
	v_dual_mul_f32 v22, 0xbf5db3d7, v12 :: v_dual_fmac_f32 v23, 0xbf5db3d7, v14
	v_fmac_f32_e32 v148, 0x3f5db3d7, v18
	s_delay_alu instid0(VALU_DEP_3) | instskip(SKIP_1) | instid1(VALU_DEP_4)
	v_dual_fmac_f32 v21, 0.5, v12 :: v_dual_and_b32 v16, 0xffff, v3
	v_mad_u16 v12, 0x21c, v63, v68
	v_fmac_f32_e32 v22, 0.5, v10
	v_add_f32_e32 v10, v6, v20
	s_delay_alu instid0(VALU_DEP_3) | instskip(NEXT) | instid1(VALU_DEP_3)
	v_and_b32_e32 v24, 0xffff, v12
	v_dual_add_f32 v12, v25, v21 :: v_dual_add_f32 v13, v26, v22
	s_delay_alu instid0(VALU_DEP_2) | instskip(SKIP_4) | instid1(VALU_DEP_3)
	v_lshlrev_b32_e32 v81, 3, v24
	ds_store_2addr_b64 v81, v[9:10], v[12:13] offset1:90
	v_mul_f32_e32 v12, -0.5, v7
	v_dual_sub_f32 v9, v15, v19 :: v_dual_sub_f32 v10, v6, v20
	v_add_nc_u32_e32 v13, 0x400, v81
	v_fmac_f32_e32 v12, 0x3f5db3d7, v8
	v_mul_f32_e32 v8, -0.5, v8
	s_delay_alu instid0(VALU_DEP_2) | instskip(NEXT) | instid1(VALU_DEP_2)
	v_add_f32_e32 v6, v23, v12
	v_fmac_f32_e32 v8, 0xbf5db3d7, v7
	s_delay_alu instid0(VALU_DEP_1)
	v_add_f32_e32 v7, v148, v8
	ds_store_2addr_b64 v13, v[6:7], v[9:10] offset0:52 offset1:142
	v_sub_f32_e32 v7, v148, v8
	v_sub_f32_e32 v6, v23, v12
	v_dual_sub_f32 v8, v25, v21 :: v_dual_sub_f32 v9, v26, v22
	v_add_nc_u32_e32 v10, 0x800, v81
	s_clause 0x1
	scratch_store_b32 off, v13, off offset:404
	scratch_store_b32 off, v81, off offset:432
	v_dual_sub_f32 v12, v4, v119 :: v_dual_lshlrev_b32 v81, 3, v16
	ds_store_2addr_b64 v10, v[8:9], v[6:7] offset0:104 offset1:194
	v_add_f32_e32 v7, v5, v124
	v_add_f32_e32 v6, v53, v5
	;; [unrolled: 1-line block ×3, first 2 shown]
	v_sub_f32_e32 v9, v1, v11
	scratch_store_b32 off, v10, off offset:408 ; 4-byte Folded Spill
	v_fmac_f32_e32 v53, -0.5, v7
	v_add_f32_e32 v7, v52, v1
	v_add_f32_e32 v1, v2, v69
	v_fma_f32 v8, -0.5, v8, v52
	s_delay_alu instid0(VALU_DEP_3) | instskip(SKIP_3) | instid1(VALU_DEP_3)
	v_dual_fmamk_f32 v18, v9, 0xbf5db3d7, v53 :: v_dual_add_f32 v7, v7, v11
	v_dual_add_f32 v11, v4, v119 :: v_dual_mov_b32 v80, v195
	v_add_f32_e32 v10, v0, v2
	v_dual_fmac_f32 v0, -0.5, v1 :: v_dual_add_f32 v1, v61, v4
	v_fmac_f32_e32 v61, -0.5, v11
	v_sub_f32_e32 v11, v2, v69
	v_fmac_f32_e32 v53, 0x3f5db3d7, v9
	v_sub_f32_e32 v5, v5, v124
	v_add_f32_e32 v13, v1, v119
	v_fmamk_f32 v1, v12, 0xbf5db3d7, v0
	v_fmamk_f32 v2, v11, 0x3f5db3d7, v61
	v_fmac_f32_e32 v61, 0xbf5db3d7, v11
	v_fmamk_f32 v17, v5, 0x3f5db3d7, v8
	v_fmac_f32_e32 v8, 0xbf5db3d7, v5
	v_mul_f32_e32 v14, 0x3f5db3d7, v1
	v_mul_f32_e32 v15, 0xbf5db3d7, v2
	v_dual_fmac_f32 v0, 0x3f5db3d7, v12 :: v_dual_mul_f32 v5, -0.5, v61
	v_add_f32_e32 v6, v6, v124
	v_add_f32_e32 v10, v10, v69
	s_delay_alu instid0(VALU_DEP_4) | instskip(NEXT) | instid1(VALU_DEP_4)
	v_dual_fmac_f32 v14, 0.5, v2 :: v_dual_fmac_f32 v15, 0.5, v1
	v_fmac_f32_e32 v5, 0x3f5db3d7, v0
	v_mul_f32_e32 v0, -0.5, v0
	v_dual_mov_b32 v84, v170 :: v_dual_add_f32 v1, v7, v13
	v_add_f32_e32 v2, v6, v10
	v_dual_add_f32 v3, v17, v14 :: v_dual_add_f32 v4, v18, v15
	s_delay_alu instid0(VALU_DEP_4)
	v_fmac_f32_e32 v0, 0xbf5db3d7, v61
	ds_store_2addr_b64 v81, v[1:2], v[3:4] offset1:90
	v_dual_sub_f32 v1, v7, v13 :: v_dual_sub_f32 v2, v6, v10
	v_dual_add_f32 v3, v8, v5 :: v_dual_add_f32 v4, v53, v0
	v_add_nc_u32_e32 v6, 0x400, v81
	ds_store_2addr_b64 v6, v[3:4], v[1:2] offset0:52 offset1:142
	v_dual_sub_f32 v1, v53, v0 :: v_dual_sub_f32 v0, v8, v5
	v_dual_sub_f32 v2, v17, v14 :: v_dual_sub_f32 v3, v18, v15
	v_add_nc_u32_e32 v4, 0x800, v81
	s_clause 0x1
	scratch_store_b32 off, v6, off offset:412
	scratch_store_b32 off, v81, off offset:436
	v_mov_b32_e32 v81, v165
	scratch_store_b32 off, v4, off offset:416 ; 4-byte Folded Spill
	ds_store_2addr_b64 v4, v[2:3], v[0:1] offset0:104 offset1:194
	v_add_co_u32 v0, vcc_lo, 0x1000, v29
	v_add_co_ci_u32_e32 v1, vcc_lo, 0, v30, vcc_lo
	s_waitcnt lgkmcnt(0)
	s_waitcnt_vscnt null, 0x0
	s_barrier
	buffer_gl0_inv
	global_load_b128 v[228:231], v[0:1], off offset:200
	v_add_co_u32 v4, vcc_lo, 0x21a8, v29
	v_add_co_ci_u32_e32 v5, vcc_lo, 0, v30, vcc_lo
	global_load_b128 v[220:223], v[4:5], off offset:16
	ds_load_2addr_b64 v[0:3], v86 offset0:56 offset1:164
	s_waitcnt vmcnt(1) lgkmcnt(0)
	v_mul_f32_e32 v6, v1, v231
	v_mul_f32_e32 v21, v0, v231
	s_delay_alu instid0(VALU_DEP_2)
	v_fma_f32 v20, v0, v230, -v6
	v_add_co_u32 v6, vcc_lo, 0x2000, v29
	v_add_co_ci_u32_e32 v7, vcc_lo, 0, v30, vcc_lo
	s_clause 0x1
	global_load_b64 v[13:14], v[4:5], off offset:32
	global_load_b128 v[195:198], v[6:7], off offset:424
	v_fmac_f32_e32 v21, v1, v230
	s_waitcnt vmcnt(0)
	v_mul_f32_e32 v0, v3, v198
	v_mul_f32_e32 v16, v2, v198
	s_delay_alu instid0(VALU_DEP_2)
	v_fma_f32 v41, v2, v197, -v0
	v_add_co_u32 v0, vcc_lo, 0x10c8, v29
	v_add_co_ci_u32_e32 v1, vcc_lo, 0, v30, vcc_lo
	s_clause 0x1
	global_load_b64 v[32:33], v[0:1], off offset:32
	global_load_b128 v[124:127], v[0:1], off offset:16
	v_fmac_f32_e32 v16, v3, v197
	ds_load_2addr_b64 v[0:3], v88 offset0:112 offset1:220
	s_waitcnt lgkmcnt(0)
	v_mul_f32_e32 v45, v2, v223
	s_waitcnt vmcnt(0)
	s_delay_alu instid0(VALU_DEP_1) | instskip(SKIP_1) | instid1(VALU_DEP_2)
	v_dual_fmac_f32 v45, v3, v222 :: v_dual_mul_f32 v4, v1, v127
	v_mul_f32_e32 v27, v0, v127
	v_fma_f32 v26, v0, v126, -v4
	s_delay_alu instid0(VALU_DEP_2) | instskip(NEXT) | instid1(VALU_DEP_1)
	v_dual_mul_f32 v0, v3, v223 :: v_dual_fmac_f32 v27, v1, v126
	v_fma_f32 v44, v2, v222, -v0
	ds_load_2addr_b64 v[2:5], v66 offset0:136 offset1:244
	s_waitcnt lgkmcnt(0)
	v_mul_f32_e32 v0, v3, v196
	v_mul_f32_e32 v31, v2, v196
	s_delay_alu instid0(VALU_DEP_2)
	v_fma_f32 v39, v2, v195, -v0
	v_add_co_u32 v0, vcc_lo, 0x3000, v29
	v_add_co_ci_u32_e32 v1, vcc_lo, 0, v30, vcc_lo
	v_add_co_u32 v7, vcc_lo, 0x4368, v29
	v_add_co_ci_u32_e32 v8, vcc_lo, 0, v30, vcc_lo
	s_clause 0x1
	global_load_b128 v[116:119], v[0:1], off offset:648
	global_load_b128 v[144:147], v[7:8], off offset:16
	s_waitcnt vmcnt(1)
	v_dual_fmac_f32 v31, v3, v195 :: v_dual_mul_f32 v0, v5, v117
	v_mul_f32_e32 v15, v4, v117
	s_delay_alu instid0(VALU_DEP_2) | instskip(NEXT) | instid1(VALU_DEP_2)
	v_fma_f32 v17, v4, v116, -v0
	v_fmac_f32_e32 v15, v5, v116
	ds_load_2addr_b64 v[3:6], v165 offset0:64 offset1:172
	s_waitcnt lgkmcnt(0)
	v_mul_f32_e32 v0, v4, v221
	v_mul_f32_e32 v47, v3, v221
	s_delay_alu instid0(VALU_DEP_2)
	v_fma_f32 v46, v3, v220, -v0
	v_add_co_u32 v0, vcc_lo, 0x3288, v29
	v_add_co_ci_u32_e32 v1, vcc_lo, 0, v30, vcc_lo
	s_clause 0x1
	global_load_b64 v[2:3], v[0:1], off offset:32
	global_load_b128 v[148:151], v[0:1], off offset:16
	ds_load_2addr_b64 v[9:12], v164 offset0:120 offset1:228
	scratch_store_b64 off, v[13:14], off offset:516 ; 8-byte Folded Spill
	v_fmac_f32_e32 v47, v4, v220
	s_waitcnt lgkmcnt(0)
	v_mul_f32_e32 v49, v9, v14
	s_delay_alu instid0(VALU_DEP_1)
	v_fmac_f32_e32 v49, v10, v13
	s_waitcnt vmcnt(1)
	scratch_store_b64 off, v[2:3], off offset:524 ; 8-byte Folded Spill
	s_waitcnt vmcnt(0)
	v_dual_mul_f32 v0, v6, v149 :: v_dual_mul_f32 v23, v11, v3
	v_mul_f32_e32 v35, v5, v149
	s_delay_alu instid0(VALU_DEP_2) | instskip(SKIP_1) | instid1(VALU_DEP_4)
	v_fma_f32 v63, v5, v148, -v0
	v_mul_f32_e32 v0, v10, v14
	v_fmac_f32_e32 v23, v12, v2
	s_delay_alu instid0(VALU_DEP_4) | instskip(NEXT) | instid1(VALU_DEP_3)
	v_fmac_f32_e32 v35, v6, v148
	v_fma_f32 v48, v9, v13, -v0
	v_mul_f32_e32 v0, v12, v3
	s_delay_alu instid0(VALU_DEP_1) | instskip(SKIP_4) | instid1(VALU_DEP_2)
	v_fma_f32 v34, v11, v2, -v0
	ds_load_2addr_b64 v[9:12], v168 offset0:16 offset1:124
	s_waitcnt lgkmcnt(0)
	v_mul_f32_e32 v0, v10, v119
	v_mul_f32_e32 v25, v9, v119
	v_fma_f32 v58, v9, v118, -v0
	v_add_co_u32 v0, vcc_lo, 0x4000, v29
	v_add_co_ci_u32_e32 v1, vcc_lo, 0, v30, vcc_lo
	s_clause 0x1
	global_load_b64 v[5:6], v[7:8], off offset:32
	global_load_b128 v[140:143], v[0:1], off offset:872
	s_waitcnt vmcnt(0)
	v_dual_fmac_f32 v25, v10, v118 :: v_dual_mul_f32 v0, v12, v143
	v_mul_f32_e32 v22, v11, v143
	s_delay_alu instid0(VALU_DEP_2) | instskip(NEXT) | instid1(VALU_DEP_2)
	v_fma_f32 v37, v11, v142, -v0
	v_fmac_f32_e32 v22, v12, v142
	ds_load_2addr_b64 v[9:12], v167 offset0:72 offset1:180
	s_waitcnt lgkmcnt(0)
	v_mul_f32_e32 v0, v10, v151
	v_mul_f32_e32 v51, v9, v151
	;; [unrolled: 1-line block ×3, first 2 shown]
	s_delay_alu instid0(VALU_DEP_3) | instskip(NEXT) | instid1(VALU_DEP_3)
	v_fma_f32 v50, v9, v150, -v0
	v_dual_mul_f32 v0, v12, v147 :: v_dual_fmac_f32 v51, v10, v150
	s_delay_alu instid0(VALU_DEP_3) | instskip(NEXT) | instid1(VALU_DEP_2)
	v_fmac_f32_e32 v19, v12, v146
	v_fma_f32 v38, v11, v146, -v0
	ds_load_2addr_b64 v[9:12], v166 offset0:96 offset1:204
	ds_load_2addr_b64 v[164:167], v169 offset0:104 offset1:212
	s_waitcnt lgkmcnt(1)
	v_mul_f32_e32 v0, v10, v141
	v_mul_f32_e32 v14, v9, v141
	s_waitcnt lgkmcnt(0)
	v_mul_f32_e32 v3, v166, v125
	s_delay_alu instid0(VALU_DEP_3)
	v_fma_f32 v18, v9, v140, -v0
	v_add_co_u32 v0, vcc_lo, 0x5000, v29
	v_add_co_ci_u32_e32 v1, vcc_lo, 0, v30, vcc_lo
	v_fmac_f32_e32 v14, v10, v140
	v_fmac_f32_e32 v3, v167, v124
	global_load_b128 v[156:159], v[0:1], off offset:1096
	s_waitcnt vmcnt(0)
	v_mul_f32_e32 v0, v12, v157
	v_dual_mul_f32 v24, v164, v159 :: v_dual_mul_f32 v9, v11, v157
	s_delay_alu instid0(VALU_DEP_2) | instskip(SKIP_1) | instid1(VALU_DEP_3)
	v_fma_f32 v10, v11, v156, -v0
	v_mul_f32_e32 v0, v167, v125
	v_dual_fmac_f32 v24, v165, v158 :: v_dual_fmac_f32 v9, v12, v156
	s_delay_alu instid0(VALU_DEP_2) | instskip(SKIP_2) | instid1(VALU_DEP_1)
	v_fma_f32 v8, v166, v124, -v0
	ds_load_2addr_b64 v[166:169], v80 offset0:24 offset1:132
	v_mul_f32_e32 v0, v165, v159
	v_fma_f32 v57, v164, v158, -v0
	v_add_co_u32 v0, vcc_lo, 0x5448, v29
	v_add_co_ci_u32_e32 v1, vcc_lo, 0, v30, vcc_lo
	s_waitcnt lgkmcnt(0)
	v_mul_f32_e32 v4, v167, v145
	v_mul_f32_e32 v30, v166, v145
	s_delay_alu instid0(VALU_DEP_2) | instskip(NEXT) | instid1(VALU_DEP_2)
	v_fma_f32 v36, v166, v144, -v4
	v_fmac_f32_e32 v30, v167, v144
	s_clause 0x1
	global_load_b64 v[245:246], v[0:1], off offset:32
	global_load_b128 v[164:167], v[0:1], off offset:16
	s_clause 0x1
	scratch_store_b64 off, v[32:33], off offset:492
	scratch_store_b64 off, v[5:6], off offset:532
	s_waitcnt vmcnt(0)
	v_mul_f32_e32 v0, v169, v165
	v_mul_f32_e32 v12, v168, v165
	s_delay_alu instid0(VALU_DEP_2) | instskip(NEXT) | instid1(VALU_DEP_2)
	v_fma_f32 v56, v168, v164, -v0
	v_fmac_f32_e32 v12, v169, v164
	ds_load_2addr_b64 v[168:171], v170 offset0:32 offset1:140
	s_waitcnt lgkmcnt(0)
	v_mul_f32_e32 v0, v171, v33
	v_dual_mul_f32 v1, v170, v33 :: v_dual_mul_f32 v4, v169, v167
	v_mul_f32_e32 v11, v168, v167
	s_delay_alu instid0(VALU_DEP_3) | instskip(NEXT) | instid1(VALU_DEP_3)
	v_fma_f32 v2, v170, v32, -v0
	v_fmac_f32_e32 v1, v171, v32
	s_delay_alu instid0(VALU_DEP_4) | instskip(NEXT) | instid1(VALU_DEP_4)
	v_fma_f32 v40, v168, v166, -v4
	v_fmac_f32_e32 v11, v169, v166
	ds_load_2addr_b64 v[168:171], v89 offset0:80 offset1:188
	s_waitcnt lgkmcnt(0)
	v_mul_f32_e32 v4, v169, v6
	v_mul_f32_e32 v53, v168, v6
	;; [unrolled: 1-line block ×3, first 2 shown]
	s_delay_alu instid0(VALU_DEP_3) | instskip(NEXT) | instid1(VALU_DEP_3)
	v_fma_f32 v52, v168, v5, -v4
	v_dual_mul_f32 v4, v171, v246 :: v_dual_fmac_f32 v53, v169, v5
	s_delay_alu instid0(VALU_DEP_3) | instskip(NEXT) | instid1(VALU_DEP_2)
	v_fmac_f32_e32 v13, v171, v245
	v_fma_f32 v60, v170, v245, -v4
	ds_load_2addr_b64 v[168:171], v225 offset0:48 offset1:156
	s_waitcnt lgkmcnt(0)
	v_mul_f32_e32 v4, v171, v229
	v_mul_f32_e32 v55, v170, v229
	s_delay_alu instid0(VALU_DEP_2) | instskip(SKIP_2) | instid1(VALU_DEP_1)
	v_fma_f32 v54, v170, v228, -v4
	ds_load_2addr_b64 v[4:7], v178 offset1:108
	v_fmac_f32_e32 v55, v171, v228
	v_dual_add_f32 v170, v54, v8 :: v_dual_add_f32 v59, v55, v3
	s_delay_alu instid0(VALU_DEP_1) | instskip(SKIP_2) | instid1(VALU_DEP_1)
	v_dual_add_f32 v0, v170, v2 :: v_dual_add_f32 v59, v59, v1
	s_waitcnt lgkmcnt(0)
	v_dual_add_f32 v28, v4, v20 :: v_dual_add_f32 v29, v5, v21
	v_dual_add_f32 v28, v28, v26 :: v_dual_add_f32 v29, v29, v27
	s_delay_alu instid0(VALU_DEP_1) | instskip(SKIP_4) | instid1(VALU_DEP_2)
	v_dual_add_f32 v170, v28, v0 :: v_dual_add_f32 v171, v29, v59
	v_dual_sub_f32 v32, v28, v0 :: v_dual_sub_f32 v33, v29, v59
	v_sub_f32_e32 v59, v21, v27
	v_dual_add_f32 v0, v21, v27 :: v_dual_add_f32 v21, v3, v1
	v_sub_f32_e32 v3, v3, v1
	v_fma_f32 v0, -0.5, v0, v5
	s_delay_alu instid0(VALU_DEP_3) | instskip(SKIP_4) | instid1(VALU_DEP_3)
	v_fmac_f32_e32 v55, -0.5, v21
	v_add_f32_e32 v21, v8, v2
	v_sub_f32_e32 v2, v8, v2
	v_add_f32_e32 v8, v20, v26
	v_sub_f32_e32 v20, v20, v26
	v_dual_fmac_f32 v54, -0.5, v21 :: v_dual_fmamk_f32 v1, v2, 0xbf5db3d7, v55
	s_delay_alu instid0(VALU_DEP_3) | instskip(SKIP_1) | instid1(VALU_DEP_4)
	v_fma_f32 v8, -0.5, v8, v4
	v_fmac_f32_e32 v55, 0x3f5db3d7, v2
	v_fmamk_f32 v4, v20, 0xbf5db3d7, v0
	s_delay_alu instid0(VALU_DEP_4) | instskip(SKIP_1) | instid1(VALU_DEP_4)
	v_dual_fmamk_f32 v21, v3, 0x3f5db3d7, v54 :: v_dual_mul_f32 v26, 0x3f5db3d7, v1
	v_fmac_f32_e32 v54, 0xbf5db3d7, v3
	v_mul_f32_e32 v2, -0.5, v55
	v_fmac_f32_e32 v0, 0x3f5db3d7, v20
	s_delay_alu instid0(VALU_DEP_4) | instskip(NEXT) | instid1(VALU_DEP_3)
	v_fmac_f32_e32 v26, 0.5, v21
	v_dual_mul_f32 v21, 0xbf5db3d7, v21 :: v_dual_fmac_f32 v2, 0xbf5db3d7, v54
	s_delay_alu instid0(VALU_DEP_1) | instskip(SKIP_1) | instid1(VALU_DEP_3)
	v_fmac_f32_e32 v21, 0.5, v1
	v_fmamk_f32 v1, v59, 0x3f5db3d7, v8
	v_dual_fmac_f32 v8, 0xbf5db3d7, v59 :: v_dual_add_f32 v5, v0, v2
	s_delay_alu instid0(VALU_DEP_2)
	v_dual_add_f32 v28, v4, v21 :: v_dual_add_f32 v27, v1, v26
	v_sub_f32_e32 v42, v1, v26
	v_mul_f32_e32 v1, -0.5, v54
	v_sub_f32_e32 v43, v4, v21
	v_sub_f32_e32 v21, v0, v2
	ds_store_b64 v178, v[27:28] offset:4320
	v_dual_sub_f32 v26, v46, v48 :: v_dual_fmac_f32 v1, 0x3f5db3d7, v55
	s_delay_alu instid0(VALU_DEP_1)
	v_dual_sub_f32 v27, v41, v44 :: v_dual_add_f32 v4, v8, v1
	v_sub_f32_e32 v20, v8, v1
	ds_load_2addr_b64 v[0:3], v224 offset0:88 offset1:196
	ds_store_b64 v178, v[4:5] offset:8640
	ds_store_b64 v178, v[32:33] offset:12960
	;; [unrolled: 1-line block ×4, first 2 shown]
	v_add_f32_e32 v4, v6, v41
	s_delay_alu instid0(VALU_DEP_1) | instskip(SKIP_1) | instid1(VALU_DEP_1)
	v_dual_sub_f32 v33, v47, v49 :: v_dual_add_f32 v8, v4, v44
	v_add_f32_e32 v4, v7, v16
	v_add_f32_e32 v28, v4, v45
	;; [unrolled: 1-line block ×3, first 2 shown]
	s_delay_alu instid0(VALU_DEP_1) | instskip(NEXT) | instid1(VALU_DEP_1)
	v_dual_add_f32 v29, v4, v48 :: v_dual_add_f32 v4, v31, v47
	v_add_f32_e32 v32, v4, v49
	s_delay_alu instid0(VALU_DEP_2) | instskip(NEXT) | instid1(VALU_DEP_2)
	v_add_f32_e32 v4, v8, v29
	v_add_f32_e32 v5, v28, v32
	ds_store_2addr_b64 v178, v[170:171], v[4:5] offset1:108
	v_dual_add_f32 v4, v16, v45 :: v_dual_add_f32 v5, v41, v44
	v_sub_f32_e32 v16, v16, v45
	v_dual_sub_f32 v44, v25, v51 :: v_dual_sub_f32 v45, v58, v50
	s_delay_alu instid0(VALU_DEP_3) | instskip(NEXT) | instid1(VALU_DEP_4)
	v_dual_fmac_f32 v7, -0.5, v4 :: v_dual_add_f32 v4, v47, v49
	v_fma_f32 v6, -0.5, v5, v6
	s_delay_alu instid0(VALU_DEP_2) | instskip(NEXT) | instid1(VALU_DEP_3)
	v_fmamk_f32 v42, v27, 0xbf5db3d7, v7
	v_fmac_f32_e32 v31, -0.5, v4
	v_dual_add_f32 v4, v46, v48 :: v_dual_fmac_f32 v7, 0x3f5db3d7, v27
	s_delay_alu instid0(VALU_DEP_1) | instskip(NEXT) | instid1(VALU_DEP_3)
	v_fmac_f32_e32 v39, -0.5, v4
	v_fmamk_f32 v4, v26, 0xbf5db3d7, v31
	v_fmac_f32_e32 v31, 0x3f5db3d7, v26
	s_delay_alu instid0(VALU_DEP_2) | instskip(SKIP_2) | instid1(VALU_DEP_3)
	v_dual_fmamk_f32 v20, v33, 0x3f5db3d7, v39 :: v_dual_mul_f32 v21, 0x3f5db3d7, v4
	v_fmac_f32_e32 v39, 0xbf5db3d7, v33
	v_sub_f32_e32 v33, v63, v34
	v_mul_f32_e32 v41, 0xbf5db3d7, v20
	s_delay_alu instid0(VALU_DEP_4) | instskip(SKIP_1) | instid1(VALU_DEP_3)
	v_dual_fmac_f32 v21, 0.5, v20 :: v_dual_fmamk_f32 v20, v16, 0x3f5db3d7, v6
	v_fmac_f32_e32 v6, 0xbf5db3d7, v16
	v_dual_mul_f32 v16, -0.5, v39 :: v_dual_fmac_f32 v41, 0.5, v4
	s_delay_alu instid0(VALU_DEP_3) | instskip(SKIP_1) | instid1(VALU_DEP_3)
	v_add_f32_e32 v4, v20, v21
	v_sub_f32_e32 v20, v20, v21
	v_fmac_f32_e32 v16, 0x3f5db3d7, v31
	v_mul_f32_e32 v31, -0.5, v31
	v_sub_f32_e32 v21, v42, v41
	v_add_f32_e32 v5, v42, v41
	s_delay_alu instid0(VALU_DEP_3) | instskip(NEXT) | instid1(VALU_DEP_1)
	v_dual_add_f32 v26, v6, v16 :: v_dual_fmac_f32 v31, 0xbf5db3d7, v39
	v_add_f32_e32 v27, v7, v31
	ds_store_b64 v178, v[26:27] offset:9504
	ds_store_b64 v178, v[20:21] offset:18144
	v_add_f32_e32 v20, v63, v34
	v_add_f32_e32 v26, v17, v63
	;; [unrolled: 1-line block ×3, first 2 shown]
	s_delay_alu instid0(VALU_DEP_3) | instskip(SKIP_1) | instid1(VALU_DEP_3)
	v_dual_fmac_f32 v17, -0.5, v20 :: v_dual_add_f32 v20, v35, v23
	v_sub_f32_e32 v35, v35, v23
	v_add_f32_e32 v23, v27, v23
	s_delay_alu instid0(VALU_DEP_3) | instskip(NEXT) | instid1(VALU_DEP_3)
	v_fmac_f32_e32 v15, -0.5, v20
	v_fmamk_f32 v21, v35, 0x3f5db3d7, v17
	v_fmac_f32_e32 v17, 0xbf5db3d7, v35
	s_delay_alu instid0(VALU_DEP_2) | instskip(SKIP_1) | instid1(VALU_DEP_2)
	v_dual_fmamk_f32 v20, v33, 0xbf5db3d7, v15 :: v_dual_mul_f32 v41, 0xbf5db3d7, v21
	v_fmac_f32_e32 v15, 0x3f5db3d7, v33
	v_mul_f32_e32 v39, 0x3f5db3d7, v20
	s_delay_alu instid0(VALU_DEP_3) | instskip(NEXT) | instid1(VALU_DEP_2)
	v_dual_fmac_f32 v41, 0.5, v20 :: v_dual_add_f32 v20, v58, v50
	v_fmac_f32_e32 v39, 0.5, v21
	s_waitcnt lgkmcnt(7)
	s_delay_alu instid0(VALU_DEP_2) | instskip(SKIP_2) | instid1(VALU_DEP_3)
	v_fma_f32 v42, -0.5, v20, v0
	v_add_f32_e32 v20, v25, v51
	v_add_f32_e32 v0, v0, v58
	v_fmamk_f32 v46, v44, 0x3f5db3d7, v42
	s_delay_alu instid0(VALU_DEP_3) | instskip(SKIP_1) | instid1(VALU_DEP_2)
	v_fma_f32 v43, -0.5, v20, v1
	v_fmac_f32_e32 v42, 0xbf5db3d7, v44
	v_dual_add_f32 v20, v46, v39 :: v_dual_fmamk_f32 v47, v45, 0xbf5db3d7, v43
	v_fmac_f32_e32 v43, 0x3f5db3d7, v45
	s_delay_alu instid0(VALU_DEP_2)
	v_add_f32_e32 v21, v47, v41
	ds_store_2addr_b64 v66, v[4:5], v[20:21] offset0:136 offset1:244
	v_sub_f32_e32 v4, v8, v29
	v_add_f32_e32 v8, v0, v50
	v_dual_add_f32 v0, v1, v25 :: v_dual_add_f32 v21, v26, v34
	v_sub_f32_e32 v5, v28, v32
	v_dual_mov_b32 v25, v224 :: v_dual_mov_b32 v34, v67
	s_delay_alu instid0(VALU_DEP_3) | instskip(NEXT) | instid1(VALU_DEP_2)
	v_add_f32_e32 v20, v0, v51
	v_dual_sub_f32 v0, v8, v21 :: v_dual_mov_b32 v61, v34
	s_delay_alu instid0(VALU_DEP_2) | instskip(SKIP_3) | instid1(VALU_DEP_1)
	v_sub_f32_e32 v1, v20, v23
	ds_store_2addr_b64 v81, v[4:5], v[0:1] offset0:64 offset1:172
	v_dual_sub_f32 v1, v7, v31 :: v_dual_sub_f32 v0, v6, v16
	v_dual_mul_f32 v6, -0.5, v17 :: v_dual_mul_f32 v7, -0.5, v15
	v_fmac_f32_e32 v6, 0x3f5db3d7, v15
	s_delay_alu instid0(VALU_DEP_1) | instskip(NEXT) | instid1(VALU_DEP_1)
	v_dual_fmac_f32 v7, 0xbf5db3d7, v17 :: v_dual_sub_f32 v4, v42, v6
	v_sub_f32_e32 v5, v43, v7
	ds_store_2addr_b64 v82, v[0:1], v[4:5] offset0:120 offset1:228
	v_add_f32_e32 v4, v2, v37
	v_add_f32_e32 v0, v8, v21
	;; [unrolled: 1-line block ×3, first 2 shown]
	s_delay_alu instid0(VALU_DEP_3) | instskip(SKIP_1) | instid1(VALU_DEP_1)
	v_add_f32_e32 v8, v4, v38
	v_add_f32_e32 v4, v3, v22
	v_dual_add_f32 v15, v4, v19 :: v_dual_add_f32 v4, v18, v36
	s_delay_alu instid0(VALU_DEP_1) | instskip(SKIP_1) | instid1(VALU_DEP_1)
	v_add_f32_e32 v16, v4, v52
	v_add_f32_e32 v4, v14, v30
	v_add_f32_e32 v17, v4, v53
	s_delay_alu instid0(VALU_DEP_1) | instskip(SKIP_4) | instid1(VALU_DEP_3)
	v_dual_add_f32 v4, v8, v16 :: v_dual_add_f32 v5, v15, v17
	ds_store_2addr_b64 v224, v[0:1], v[4:5] offset0:88 offset1:196
	v_dual_add_f32 v4, v37, v38 :: v_dual_add_f32 v5, v36, v52
	v_add_f32_e32 v0, v42, v6
	v_dual_sub_f32 v6, v30, v53 :: v_dual_add_f32 v1, v43, v7
	v_fma_f32 v2, -0.5, v4, v2
	v_sub_f32_e32 v4, v22, v19
	v_fmac_f32_e32 v18, -0.5, v5
	v_dual_add_f32 v5, v30, v53 :: v_dual_mov_b32 v224, v73
	s_delay_alu instid0(VALU_DEP_3) | instskip(SKIP_2) | instid1(VALU_DEP_4)
	v_fmamk_f32 v20, v4, 0x3f5db3d7, v2
	v_fmac_f32_e32 v2, 0xbf5db3d7, v4
	v_add_f32_e32 v4, v22, v19
	v_dual_fmac_f32 v14, -0.5, v5 :: v_dual_sub_f32 v5, v36, v52
	v_fmamk_f32 v19, v6, 0x3f5db3d7, v18
	s_delay_alu instid0(VALU_DEP_3) | instskip(SKIP_1) | instid1(VALU_DEP_4)
	v_dual_fmac_f32 v18, 0xbf5db3d7, v6 :: v_dual_fmac_f32 v3, -0.5, v4
	v_sub_f32_e32 v4, v37, v38
	v_fmamk_f32 v22, v5, 0xbf5db3d7, v14
	s_delay_alu instid0(VALU_DEP_3) | instskip(SKIP_1) | instid1(VALU_DEP_4)
	v_dual_fmac_f32 v14, 0x3f5db3d7, v5 :: v_dual_mul_f32 v23, -0.5, v18
	v_add_f32_e32 v6, v168, v57
	v_fmamk_f32 v21, v4, 0xbf5db3d7, v3
	v_fmac_f32_e32 v3, 0x3f5db3d7, v4
	s_delay_alu instid0(VALU_DEP_4) | instskip(SKIP_1) | instid1(VALU_DEP_2)
	v_fmac_f32_e32 v23, 0x3f5db3d7, v14
	v_mul_f32_e32 v14, -0.5, v14
	v_add_f32_e32 v4, v2, v23
	s_delay_alu instid0(VALU_DEP_2) | instskip(SKIP_1) | instid1(VALU_DEP_1)
	v_fmac_f32_e32 v14, 0xbf5db3d7, v18
	v_mul_f32_e32 v18, 0x3f5db3d7, v22
	v_dual_add_f32 v5, v3, v14 :: v_dual_fmac_f32 v18, 0.5, v19
	v_mul_f32_e32 v19, 0xbf5db3d7, v19
	ds_store_2addr_b64 v67, v[0:1], v[4:5] offset0:16 offset1:124
	v_sub_f32_e32 v0, v8, v16
	v_add_f32_e32 v8, v6, v40
	v_dual_add_f32 v6, v169, v24 :: v_dual_sub_f32 v1, v15, v17
	v_dual_fmac_f32 v19, 0.5, v22 :: v_dual_sub_f32 v4, v46, v39
	v_sub_f32_e32 v5, v47, v41
	s_delay_alu instid0(VALU_DEP_3)
	v_add_f32_e32 v15, v6, v11
	v_add_f32_e32 v6, v10, v56
	ds_store_b64 v178, v[0:1] offset:15552
	v_dual_sub_f32 v0, v20, v18 :: v_dual_sub_f32 v1, v21, v19
	v_dual_mov_b32 v67, v25 :: v_dual_add_f32 v16, v6, v60
	v_add_f32_e32 v6, v9, v12
	ds_store_2addr_b64 v85, v[4:5], v[0:1] offset0:72 offset1:180
	v_dual_sub_f32 v1, v3, v14 :: v_dual_sub_f32 v0, v2, v23
	v_dual_add_f32 v17, v6, v13 :: v_dual_add_f32 v6, v8, v16
	v_sub_f32_e32 v4, v56, v60
	v_dual_sub_f32 v5, v57, v40 :: v_dual_add_f32 v2, v20, v18
	s_delay_alu instid0(VALU_DEP_3)
	v_add_f32_e32 v7, v15, v17
	ds_store_b64 v178, v[0:1] offset:24192
	ds_store_b64 v178, v[6:7] offset:3456
	v_add_f32_e32 v0, v24, v11
	v_dual_sub_f32 v6, v12, v13 :: v_dual_add_f32 v1, v57, v40
	v_sub_f32_e32 v11, v24, v11
	v_add_f32_e32 v3, v21, v19
	s_delay_alu instid0(VALU_DEP_4) | instskip(NEXT) | instid1(VALU_DEP_4)
	v_dual_fmac_f32 v169, -0.5, v0 :: v_dual_add_f32 v0, v12, v13
	v_fma_f32 v13, -0.5, v1, v168
	v_mov_b32_e32 v90, v67
	s_delay_alu instid0(VALU_DEP_3) | instskip(NEXT) | instid1(VALU_DEP_4)
	v_fmamk_f32 v18, v5, 0xbf5db3d7, v169
	v_fmac_f32_e32 v9, -0.5, v0
	v_add_f32_e32 v0, v56, v60
	v_fmamk_f32 v14, v11, 0x3f5db3d7, v13
	v_fmac_f32_e32 v169, 0x3f5db3d7, v5
	v_fmac_f32_e32 v13, 0xbf5db3d7, v11
	s_delay_alu instid0(VALU_DEP_4) | instskip(SKIP_2) | instid1(VALU_DEP_3)
	v_dual_sub_f32 v5, v15, v17 :: v_dual_fmac_f32 v10, -0.5, v0
	v_fmamk_f32 v0, v4, 0xbf5db3d7, v9
	v_fmac_f32_e32 v9, 0x3f5db3d7, v4
	v_dual_sub_f32 v4, v8, v16 :: v_dual_fmamk_f32 v7, v6, 0x3f5db3d7, v10
	s_delay_alu instid0(VALU_DEP_3) | instskip(SKIP_1) | instid1(VALU_DEP_2)
	v_mul_f32_e32 v12, 0x3f5db3d7, v0
	v_fmac_f32_e32 v10, 0xbf5db3d7, v6
	v_fmac_f32_e32 v12, 0.5, v7
	s_delay_alu instid0(VALU_DEP_1) | instskip(NEXT) | instid1(VALU_DEP_1)
	v_dual_mul_f32 v7, 0xbf5db3d7, v7 :: v_dual_sub_f32 v6, v14, v12
	v_fmac_f32_e32 v7, 0.5, v0
	v_add_f32_e32 v0, v14, v12
	s_delay_alu instid0(VALU_DEP_2) | instskip(SKIP_4) | instid1(VALU_DEP_2)
	v_add_f32_e32 v1, v18, v7
	v_sub_f32_e32 v7, v18, v7
	ds_store_2addr_b64 v73, v[2:3], v[0:1] offset0:96 offset1:204
	v_mul_f32_e32 v0, -0.5, v9
	v_mul_f32_e32 v2, -0.5, v10
	v_fmac_f32_e32 v0, 0xbf5db3d7, v10
	s_delay_alu instid0(VALU_DEP_1) | instskip(SKIP_1) | instid1(VALU_DEP_2)
	v_dual_fmac_f32 v2, 0x3f5db3d7, v9 :: v_dual_add_f32 v1, v169, v0
	v_sub_f32_e32 v3, v169, v0
	v_add_f32_e32 v0, v13, v2
	v_sub_f32_e32 v2, v13, v2
	ds_store_b64 v178, v[0:1] offset:12096
	ds_store_b64 v178, v[4:5] offset:16416
	;; [unrolled: 1-line block ×4, first 2 shown]
	s_waitcnt lgkmcnt(0)
	s_waitcnt_vscnt null, 0x0
	s_barrier
	buffer_gl0_inv
	global_load_b64 v[4:5], v[226:227], off offset:1344
	v_add_co_u32 v6, vcc_lo, 0x6540, v176
	v_add_co_ci_u32_e32 v7, vcc_lo, 0, v177, vcc_lo
	s_clause 0x2
	global_load_b64 v[8:9], v[6:7], off offset:864
	global_load_b64 v[10:11], v[6:7], off offset:1728
	;; [unrolled: 1-line block ×3, first 2 shown]
	ds_load_2addr_b64 v[0:3], v178 offset1:108
	s_waitcnt vmcnt(3) lgkmcnt(0)
	v_mul_f32_e32 v14, v1, v5
	v_mul_f32_e32 v15, v0, v5
	s_delay_alu instid0(VALU_DEP_2) | instskip(SKIP_4) | instid1(VALU_DEP_3)
	v_fma_f32 v14, v0, v4, -v14
	s_waitcnt vmcnt(2)
	v_mul_f32_e32 v0, v3, v9
	v_mul_f32_e32 v55, v2, v9
	v_fmac_f32_e32 v15, v1, v4
	v_fma_f32 v54, v2, v8, -v0
	s_delay_alu instid0(VALU_DEP_3)
	v_fmac_f32_e32 v55, v3, v8
	v_add_co_u32 v8, vcc_lo, 0x8000, v176
	v_add_co_ci_u32_e32 v9, vcc_lo, 0, v177, vcc_lo
	ds_store_b64 v178, v[14:15]
	s_clause 0x1
	global_load_b64 v[14:15], v[8:9], off offset:1792
	global_load_b64 v[48:49], v[8:9], off offset:928
	ds_load_2addr_b64 v[0:3], v86 offset0:56 offset1:164
	s_waitcnt vmcnt(1) lgkmcnt(0)
	v_mul_f32_e32 v4, v1, v15
	v_mul_f32_e32 v53, v0, v15
	s_delay_alu instid0(VALU_DEP_2) | instskip(SKIP_1) | instid1(VALU_DEP_3)
	v_fma_f32 v52, v0, v14, -v4
	v_add_co_u32 v0, vcc_lo, 0xa000, v176
	v_fmac_f32_e32 v53, v1, v14
	v_add_co_ci_u32_e32 v1, vcc_lo, 0, v177, vcc_lo
	s_clause 0x3
	global_load_b64 v[14:15], v[8:9], off offset:2656
	global_load_b64 v[20:21], v[8:9], off offset:3520
	;; [unrolled: 1-line block ×4, first 2 shown]
	s_waitcnt vmcnt(3)
	v_mul_f32_e32 v4, v3, v15
	v_mul_f32_e32 v33, v2, v15
	s_delay_alu instid0(VALU_DEP_2) | instskip(NEXT) | instid1(VALU_DEP_2)
	v_fma_f32 v32, v2, v14, -v4
	v_fmac_f32_e32 v33, v3, v14
	s_clause 0x2
	global_load_b64 v[14:15], v[0:1], off offset:2240
	global_load_b64 v[28:29], v[0:1], off offset:3104
	;; [unrolled: 1-line block ×3, first 2 shown]
	ds_load_2addr_b64 v[0:3], v88 offset0:112 offset1:220
	s_waitcnt vmcnt(2) lgkmcnt(0)
	v_mul_f32_e32 v4, v1, v15
	v_mul_f32_e32 v51, v0, v15
	s_waitcnt vmcnt(1)
	v_mul_f32_e32 v27, v2, v29
	s_delay_alu instid0(VALU_DEP_3) | instskip(NEXT) | instid1(VALU_DEP_3)
	v_fma_f32 v50, v0, v14, -v4
	v_dual_mul_f32 v0, v3, v29 :: v_dual_fmac_f32 v51, v1, v14
	s_delay_alu instid0(VALU_DEP_3) | instskip(NEXT) | instid1(VALU_DEP_2)
	v_fmac_f32_e32 v27, v3, v28
	v_fma_f32 v26, v2, v28, -v0
	ds_load_2addr_b64 v[0:3], v25 offset0:88 offset1:196
	s_waitcnt lgkmcnt(0)
	v_mul_f32_e32 v4, v1, v11
	v_mul_f32_e32 v29, v0, v11
	v_mul_f32_e32 v25, v2, v13
	s_delay_alu instid0(VALU_DEP_3) | instskip(NEXT) | instid1(VALU_DEP_3)
	v_fma_f32 v28, v0, v10, -v4
	v_dual_mul_f32 v0, v3, v13 :: v_dual_fmac_f32 v29, v1, v10
	s_delay_alu instid0(VALU_DEP_3) | instskip(NEXT) | instid1(VALU_DEP_2)
	v_fmac_f32_e32 v25, v3, v12
	v_fma_f32 v24, v2, v12, -v0
	ds_load_2addr_b64 v[0:3], v34 offset0:16 offset1:124
	s_waitcnt lgkmcnt(0)
	v_mul_f32_e32 v4, v1, v21
	v_mul_f32_e32 v23, v0, v21
	s_delay_alu instid0(VALU_DEP_2) | instskip(NEXT) | instid1(VALU_DEP_2)
	v_fma_f32 v22, v0, v20, -v4
	v_fmac_f32_e32 v23, v1, v20
	v_add_co_u32 v20, vcc_lo, 0x9000, v176
	v_add_co_ci_u32_e32 v21, vcc_lo, 0, v177, vcc_lo
	global_load_b64 v[0:1], v[20:21], off offset:288
	s_waitcnt vmcnt(0)
	v_mul_f32_e32 v4, v3, v1
	v_mul_f32_e32 v35, v2, v1
	s_delay_alu instid0(VALU_DEP_2) | instskip(NEXT) | instid1(VALU_DEP_2)
	v_fma_f32 v34, v2, v0, -v4
	v_fmac_f32_e32 v35, v3, v0
	ds_load_2addr_b64 v[0:3], v85 offset0:72 offset1:180
	s_waitcnt lgkmcnt(0)
	v_mul_f32_e32 v4, v1, v31
	v_mul_f32_e32 v37, v0, v31
	s_delay_alu instid0(VALU_DEP_2) | instskip(SKIP_1) | instid1(VALU_DEP_3)
	v_fma_f32 v36, v0, v30, -v4
	v_add_co_u32 v0, vcc_lo, 0xb000, v176
	v_fmac_f32_e32 v37, v1, v30
	v_add_co_ci_u32_e32 v1, vcc_lo, 0, v177, vcc_lo
	s_clause 0x5
	global_load_b64 v[30:31], v[0:1], off offset:736
	global_load_b64 v[38:39], v[0:1], off offset:1600
	;; [unrolled: 1-line block ×6, first 2 shown]
	s_waitcnt vmcnt(5)
	v_mul_f32_e32 v0, v3, v31
	v_mul_f32_e32 v169, v2, v31
	s_delay_alu instid0(VALU_DEP_2) | instskip(NEXT) | instid1(VALU_DEP_2)
	v_fma_f32 v168, v2, v30, -v0
	v_fmac_f32_e32 v169, v3, v30
	ds_load_2addr_b64 v[0:3], v225 offset0:48 offset1:156
	s_waitcnt vmcnt(1) lgkmcnt(0)
	v_mul_f32_e32 v4, v1, v7
	v_mul_f32_e32 v31, v0, v7
	s_delay_alu instid0(VALU_DEP_2) | instskip(SKIP_1) | instid1(VALU_DEP_3)
	v_fma_f32 v30, v0, v6, -v4
	v_add_co_u32 v0, vcc_lo, 0x7000, v176
	v_fmac_f32_e32 v31, v1, v6
	v_add_co_ci_u32_e32 v1, vcc_lo, 0, v177, vcc_lo
	v_add_co_u32 v10, vcc_lo, 0xc000, v176
	v_add_co_ci_u32_e32 v11, vcc_lo, 0, v177, vcc_lo
	s_clause 0x3
	global_load_b64 v[170:171], v[0:1], off offset:1568
	global_load_b64 v[176:177], v[0:1], off offset:2432
	;; [unrolled: 1-line block ×4, first 2 shown]
	s_waitcnt vmcnt(3)
	v_mul_f32_e32 v0, v3, v171
	v_mul_f32_e32 v19, v2, v171
	s_delay_alu instid0(VALU_DEP_2) | instskip(NEXT) | instid1(VALU_DEP_2)
	v_fma_f32 v18, v2, v170, -v0
	v_fmac_f32_e32 v19, v3, v170
	s_clause 0x3
	global_load_b64 v[170:171], v[20:21], off offset:1152
	global_load_b64 v[4:5], v[20:21], off offset:2016
	;; [unrolled: 1-line block ×4, first 2 shown]
	ds_load_2addr_b64 v[0:3], v83 offset0:104 offset1:212
	s_waitcnt vmcnt(3) lgkmcnt(0)
	v_mul_f32_e32 v14, v1, v171
	v_mul_f32_e32 v17, v0, v171
	s_waitcnt vmcnt(2)
	v_mul_f32_e32 v171, v2, v5
	s_delay_alu instid0(VALU_DEP_3) | instskip(NEXT) | instid1(VALU_DEP_3)
	v_fma_f32 v16, v0, v170, -v14
	v_dual_mul_f32 v0, v3, v5 :: v_dual_fmac_f32 v17, v1, v170
	s_delay_alu instid0(VALU_DEP_3) | instskip(NEXT) | instid1(VALU_DEP_2)
	v_fmac_f32_e32 v171, v3, v4
	v_fma_f32 v170, v2, v4, -v0
	ds_load_2addr_b64 v[0:3], v84 offset0:32 offset1:140
	s_waitcnt lgkmcnt(0)
	v_mul_f32_e32 v4, v1, v39
	v_mul_f32_e32 v15, v0, v39
	v_mul_f32_e32 v39, v2, v41
	s_delay_alu instid0(VALU_DEP_3) | instskip(NEXT) | instid1(VALU_DEP_3)
	v_fma_f32 v14, v0, v38, -v4
	v_dual_mul_f32 v0, v3, v41 :: v_dual_fmac_f32 v15, v1, v38
	s_delay_alu instid0(VALU_DEP_3) | instskip(NEXT) | instid1(VALU_DEP_2)
	v_fmac_f32_e32 v39, v3, v40
	v_fma_f32 v38, v2, v40, -v0
	ds_load_2addr_b64 v[0:3], v66 offset0:136 offset1:244
	s_waitcnt lgkmcnt(0)
	v_mul_f32_e32 v4, v1, v177
	v_mul_f32_e32 v41, v0, v177
	;; [unrolled: 1-line block ×3, first 2 shown]
	s_delay_alu instid0(VALU_DEP_3) | instskip(NEXT) | instid1(VALU_DEP_3)
	v_fma_f32 v40, v0, v176, -v4
	v_dual_mul_f32 v0, v3, v227 :: v_dual_fmac_f32 v41, v1, v176
	s_delay_alu instid0(VALU_DEP_3) | instskip(NEXT) | instid1(VALU_DEP_2)
	v_fmac_f32_e32 v177, v3, v226
	v_fma_f32 v176, v2, v226, -v0
	ds_load_2addr_b64 v[0:3], v81 offset0:64 offset1:172
	s_waitcnt vmcnt(1) lgkmcnt(0)
	v_mul_f32_e32 v4, v1, v7
	v_mul_f32_e32 v227, v0, v7
	s_waitcnt vmcnt(0)
	v_mul_f32_e32 v7, v2, v21
	s_delay_alu instid0(VALU_DEP_3) | instskip(NEXT) | instid1(VALU_DEP_3)
	v_fma_f32 v226, v0, v6, -v4
	v_dual_mul_f32 v0, v3, v21 :: v_dual_fmac_f32 v227, v1, v6
	s_delay_alu instid0(VALU_DEP_3) | instskip(NEXT) | instid1(VALU_DEP_2)
	v_fmac_f32_e32 v7, v3, v20
	v_fma_f32 v6, v2, v20, -v0
	ds_load_2addr_b64 v[0:3], v82 offset0:120 offset1:228
	s_waitcnt lgkmcnt(0)
	v_mul_f32_e32 v4, v1, v43
	v_mul_f32_e32 v21, v0, v43
	v_mul_f32_e32 v43, v2, v9
	s_delay_alu instid0(VALU_DEP_3) | instskip(NEXT) | instid1(VALU_DEP_3)
	v_fma_f32 v20, v0, v42, -v4
	v_dual_mul_f32 v0, v3, v9 :: v_dual_fmac_f32 v21, v1, v42
	s_delay_alu instid0(VALU_DEP_3) | instskip(NEXT) | instid1(VALU_DEP_2)
	v_fmac_f32_e32 v43, v3, v8
	v_fma_f32 v42, v2, v8, -v0
	ds_load_2addr_b64 v[0:3], v73 offset0:96 offset1:204
	s_waitcnt lgkmcnt(0)
	v_mul_f32_e32 v4, v1, v13
	v_mul_f32_e32 v9, v0, v13
	;; [unrolled: 11-line block ×3, first 2 shown]
	v_mul_f32_e32 v47, v2, v45
	s_delay_alu instid0(VALU_DEP_3) | instskip(NEXT) | instid1(VALU_DEP_3)
	v_fma_f32 v48, v0, v46, -v4
	v_dual_mul_f32 v0, v3, v45 :: v_dual_fmac_f32 v49, v1, v46
	s_delay_alu instid0(VALU_DEP_3) | instskip(NEXT) | instid1(VALU_DEP_2)
	v_fmac_f32_e32 v47, v3, v44
	v_fma_f32 v46, v2, v44, -v0
	s_clause 0x1
	global_load_b64 v[44:45], v[10:11], off offset:960
	global_load_b64 v[10:11], v[10:11], off offset:1824
	ds_load_2addr_b64 v[0:3], v89 offset0:80 offset1:188
	s_waitcnt vmcnt(1) lgkmcnt(0)
	v_mul_f32_e32 v4, v1, v45
	v_mul_f32_e32 v5, v0, v45
	s_delay_alu instid0(VALU_DEP_2) | instskip(SKIP_1) | instid1(VALU_DEP_2)
	v_fma_f32 v4, v0, v44, -v4
	s_waitcnt vmcnt(0)
	v_dual_mul_f32 v0, v3, v11 :: v_dual_fmac_f32 v5, v1, v44
	v_mul_f32_e32 v1, v2, v11
	s_delay_alu instid0(VALU_DEP_2) | instskip(SKIP_1) | instid1(VALU_DEP_3)
	v_fma_f32 v0, v2, v10, -v0
	v_add_nc_u32_e32 v2, 0x2400, v178
	v_fmac_f32_e32 v1, v3, v10
	ds_store_2addr_b64 v2, v[32:33], v[22:23] offset0:36 offset1:144
	v_add_nc_u32_e32 v2, 0x4400, v178
	ds_store_2addr_b64 v2, v[26:27], v[36:37] offset0:92 offset1:200
	v_add_nc_u32_e32 v2, 0x800, v178
	;; [unrolled: 2-line block ×4, first 2 shown]
	v_mov_b32_e32 v14, v61
	ds_store_2addr_b64 v2, v[170:171], v[226:227] offset0:84 offset1:192
	v_dual_mov_b32 v87, v14 :: v_dual_add_nc_u32 v2, 0x1400, v178
	ds_store_2addr_b64 v2, v[176:177], v[8:9] offset0:116 offset1:224
	v_add_nc_u32_e32 v2, 0x3800, v178
	ds_store_2addr_b64 v2, v[6:7], v[48:49] offset0:44 offset1:152
	v_add_nc_u32_e32 v2, 0x5800, v178
	;; [unrolled: 2-line block ×3, first 2 shown]
	ds_store_2addr_b64 v2, v[12:13], v[52:53] offset0:76 offset1:184
	ds_store_2addr_b64 v178, v[54:55], v[28:29] offset0:108 offset1:216
	;; [unrolled: 1-line block ×6, first 2 shown]
	ds_store_b64 v178, v[0:1] offset:25056
	s_waitcnt lgkmcnt(0)
	s_barrier
	buffer_gl0_inv
	ds_load_2addr_b64 v[0:3], v178 offset1:108
	ds_load_2addr_b64 v[4:7], v86 offset0:56 offset1:164
	ds_load_2addr_b64 v[8:11], v88 offset0:112 offset1:220
	s_waitcnt lgkmcnt(1)
	v_add_f32_e32 v12, v0, v4
	s_waitcnt lgkmcnt(0)
	v_dual_add_f32 v56, v4, v8 :: v_dual_sub_f32 v45, v5, v9
	v_add_f32_e32 v13, v1, v5
	v_dual_add_f32 v50, v5, v9 :: v_dual_sub_f32 v47, v4, v8
	v_dual_add_f32 v4, v2, v6 :: v_dual_add_f32 v5, v3, v7
	v_dual_add_f32 v76, v6, v10 :: v_dual_sub_f32 v49, v7, v11
	v_dual_add_f32 v68, v7, v11 :: v_dual_sub_f32 v51, v6, v10
	v_dual_add_f32 v60, v12, v8 :: v_dual_add_f32 v61, v13, v9
	s_delay_alu instid0(VALU_DEP_4)
	v_dual_add_f32 v30, v4, v10 :: v_dual_add_f32 v31, v5, v11
	ds_load_2addr_b64 v[4:7], v67 offset0:88 offset1:196
	ds_load_2addr_b64 v[8:11], v14 offset0:16 offset1:124
	;; [unrolled: 1-line block ×3, first 2 shown]
	v_fma_f32 v0, -0.5, v56, v0
	v_fma_f32 v1, -0.5, v50, v1
	;; [unrolled: 1-line block ×3, first 2 shown]
	v_dual_fmac_f32 v3, -0.5, v68 :: v_dual_mov_b32 v68, v89
	s_waitcnt lgkmcnt(1)
	v_add_f32_e32 v16, v4, v8
	s_waitcnt lgkmcnt(0)
	v_add_f32_e32 v69, v8, v12
	v_sub_f32_e32 v53, v9, v13
	v_add_f32_e32 v17, v5, v9
	v_dual_add_f32 v54, v9, v13 :: v_dual_sub_f32 v55, v8, v12
	v_dual_add_f32 v8, v6, v10 :: v_dual_add_f32 v9, v7, v11
	v_dual_add_f32 v72, v10, v14 :: v_dual_sub_f32 v57, v11, v15
	v_dual_add_f32 v58, v11, v15 :: v_dual_sub_f32 v59, v10, v14
	v_dual_add_f32 v32, v16, v12 :: v_dual_add_f32 v33, v17, v13
	s_delay_alu instid0(VALU_DEP_4)
	v_dual_add_f32 v34, v8, v14 :: v_dual_add_f32 v35, v9, v15
	ds_load_2addr_b64 v[8:11], v225 offset0:48 offset1:156
	ds_load_2addr_b64 v[12:15], v83 offset0:104 offset1:212
	;; [unrolled: 1-line block ×3, first 2 shown]
	v_fma_f32 v6, -0.5, v72, v6
	s_waitcnt lgkmcnt(1)
	v_dual_fmac_f32 v7, -0.5, v58 :: v_dual_add_f32 v20, v8, v12
	s_waitcnt lgkmcnt(0)
	v_dual_add_f32 v64, v12, v16 :: v_dual_sub_f32 v63, v13, v17
	v_add_f32_e32 v21, v9, v13
	v_dual_add_f32 v168, v13, v17 :: v_dual_sub_f32 v169, v12, v16
	v_dual_add_f32 v12, v10, v14 :: v_dual_add_f32 v13, v11, v15
	v_dual_add_f32 v170, v14, v18 :: v_dual_sub_f32 v171, v15, v19
	v_dual_add_f32 v176, v15, v19 :: v_dual_sub_f32 v177, v14, v18
	v_dual_add_f32 v36, v20, v16 :: v_dual_add_f32 v37, v21, v17
	s_delay_alu instid0(VALU_DEP_4)
	v_dual_add_f32 v38, v12, v18 :: v_dual_add_f32 v39, v13, v19
	ds_load_2addr_b64 v[12:15], v66 offset0:136 offset1:244
	ds_load_2addr_b64 v[16:19], v81 offset0:64 offset1:172
	;; [unrolled: 1-line block ×3, first 2 shown]
	v_fma_f32 v10, -0.5, v170, v10
	v_dual_fmac_f32 v11, -0.5, v176 :: v_dual_mov_b32 v170, v83
	s_waitcnt lgkmcnt(1)
	v_add_f32_e32 v24, v12, v16
	s_waitcnt lgkmcnt(0)
	v_dual_add_f32 v226, v16, v20 :: v_dual_sub_f32 v227, v17, v21
	v_add_f32_e32 v25, v13, v17
	v_add_f32_e32 v48, v17, v21
	v_sub_f32_e32 v62, v16, v20
	v_dual_add_f32 v16, v14, v18 :: v_dual_add_f32 v17, v15, v19
	v_dual_add_f32 v52, v18, v22 :: v_dual_sub_f32 v65, v19, v23
	v_dual_add_f32 v66, v19, v23 :: v_dual_sub_f32 v67, v18, v22
	v_dual_add_f32 v40, v24, v20 :: v_dual_add_f32 v41, v25, v21
	s_delay_alu instid0(VALU_DEP_4)
	v_dual_add_f32 v42, v16, v22 :: v_dual_add_f32 v43, v17, v23
	ds_load_2addr_b64 v[16:19], v73 offset0:96 offset1:204
	ds_load_2addr_b64 v[20:23], v80 offset0:24 offset1:132
	;; [unrolled: 1-line block ×3, first 2 shown]
	s_waitcnt lgkmcnt(0)
	s_barrier
	buffer_gl0_inv
	v_fma_f32 v14, -0.5, v52, v14
	v_fmac_f32_e32 v15, -0.5, v66
	v_add_f32_e32 v74, v18, v22
	v_add_f32_e32 v75, v22, v26
	v_dual_sub_f32 v79, v22, v26 :: v_dual_add_f32 v28, v16, v20
	v_add_f32_e32 v70, v17, v21
	s_delay_alu instid0(VALU_DEP_4)
	v_add_f32_e32 v22, v74, v26
	scratch_load_b32 v26, off, off offset:260 ; 4-byte Folded Reload
	v_add_f32_e32 v71, v20, v24
	v_sub_f32_e32 v29, v21, v25
	v_dual_add_f32 v46, v21, v25 :: v_dual_sub_f32 v73, v20, v24
	v_dual_add_f32 v20, v28, v24 :: v_dual_add_f32 v21, v70, v25
	v_fmamk_f32 v24, v45, 0xbf5db3d7, v0
	v_dual_fmamk_f32 v25, v47, 0x3f5db3d7, v1 :: v_dual_fmac_f32 v0, 0x3f5db3d7, v45
	v_fmac_f32_e32 v1, 0xbf5db3d7, v47
	s_waitcnt vmcnt(0)
	ds_store_2addr_b64 v26, v[60:61], v[24:25] offset1:1
	ds_store_b64 v26, v[0:1] offset:16
	scratch_load_b32 v24, off, off offset:256 ; 4-byte Folded Reload
	v_fmamk_f32 v0, v49, 0xbf5db3d7, v2
	v_dual_fmamk_f32 v1, v51, 0x3f5db3d7, v3 :: v_dual_fmac_f32 v2, 0x3f5db3d7, v49
	v_fmac_f32_e32 v3, 0xbf5db3d7, v51
	s_waitcnt vmcnt(0)
	ds_store_2addr_b64 v24, v[30:31], v[0:1] offset1:1
	ds_store_b64 v24, v[2:3] offset:16
	v_fma_f32 v0, -0.5, v69, v4
	scratch_load_b32 v4, off, off offset:252 ; 4-byte Folded Reload
	v_fma_f32 v1, -0.5, v54, v5
	v_add_f32_e32 v78, v23, v27
	v_sub_f32_e32 v44, v23, v27
	v_fmamk_f32 v2, v53, 0xbf5db3d7, v0
	s_delay_alu instid0(VALU_DEP_4)
	v_dual_fmac_f32 v0, 0x3f5db3d7, v53 :: v_dual_fmamk_f32 v3, v55, 0x3f5db3d7, v1
	v_fmac_f32_e32 v1, 0xbf5db3d7, v55
	s_waitcnt vmcnt(0)
	ds_store_2addr_b64 v4, v[32:33], v[2:3] offset1:1
	ds_store_b64 v4, v[0:1] offset:16
	scratch_load_b32 v2, off, off offset:264 ; 4-byte Folded Reload
	v_fmamk_f32 v0, v57, 0xbf5db3d7, v6
	v_dual_fmamk_f32 v1, v59, 0x3f5db3d7, v7 :: v_dual_fmac_f32 v6, 0x3f5db3d7, v57
	v_fmac_f32_e32 v7, 0xbf5db3d7, v59
	s_waitcnt vmcnt(0)
	ds_store_2addr_b64 v2, v[34:35], v[0:1] offset1:1
	ds_store_b64 v2, v[6:7] offset:16
	scratch_load_b32 v4, off, off offset:268 ; 4-byte Folded Reload
	v_fma_f32 v0, -0.5, v64, v8
	v_fma_f32 v1, -0.5, v168, v9
	v_add_f32_e32 v77, v19, v23
	v_fma_f32 v18, -0.5, v75, v18
	s_delay_alu instid0(VALU_DEP_4) | instskip(NEXT) | instid1(VALU_DEP_4)
	v_dual_fmac_f32 v19, -0.5, v78 :: v_dual_fmamk_f32 v2, v63, 0xbf5db3d7, v0
	v_dual_fmamk_f32 v3, v169, 0x3f5db3d7, v1 :: v_dual_fmac_f32 v0, 0x3f5db3d7, v63
	v_fmac_f32_e32 v1, 0xbf5db3d7, v169
	s_waitcnt vmcnt(0)
	ds_store_2addr_b64 v4, v[36:37], v[2:3] offset1:1
	ds_store_b64 v4, v[0:1] offset:16
	scratch_load_b32 v2, off, off offset:272 ; 4-byte Folded Reload
	v_fmamk_f32 v0, v171, 0xbf5db3d7, v10
	v_dual_fmamk_f32 v1, v177, 0x3f5db3d7, v11 :: v_dual_fmac_f32 v10, 0x3f5db3d7, v171
	v_fmac_f32_e32 v11, 0xbf5db3d7, v177
	s_waitcnt vmcnt(0)
	ds_store_2addr_b64 v2, v[38:39], v[0:1] offset1:1
	ds_store_b64 v2, v[10:11] offset:16
	scratch_load_b32 v4, off, off offset:276 ; 4-byte Folded Reload
	v_fma_f32 v0, -0.5, v226, v12
	v_fma_f32 v1, -0.5, v48, v13
	v_dual_add_f32 v23, v77, v27 :: v_dual_mov_b32 v226, v86
	s_delay_alu instid0(VALU_DEP_3) | instskip(NEXT) | instid1(VALU_DEP_3)
	v_dual_mov_b32 v177, v85 :: v_dual_fmamk_f32 v2, v227, 0xbf5db3d7, v0
	v_dual_fmamk_f32 v3, v62, 0x3f5db3d7, v1 :: v_dual_fmac_f32 v0, 0x3f5db3d7, v227
	v_fmac_f32_e32 v1, 0xbf5db3d7, v62
	s_waitcnt vmcnt(0)
	ds_store_2addr_b64 v4, v[40:41], v[2:3] offset1:1
	ds_store_b64 v4, v[0:1] offset:16
	scratch_load_b32 v2, off, off offset:280 ; 4-byte Folded Reload
	v_fmamk_f32 v0, v65, 0xbf5db3d7, v14
	v_dual_fmamk_f32 v1, v67, 0x3f5db3d7, v15 :: v_dual_fmac_f32 v14, 0x3f5db3d7, v65
	v_fmac_f32_e32 v15, 0xbf5db3d7, v67
	s_waitcnt vmcnt(0)
	ds_store_2addr_b64 v2, v[42:43], v[0:1] offset1:1
	ds_store_b64 v2, v[14:15] offset:16
	scratch_load_b32 v4, off, off offset:284 ; 4-byte Folded Reload
	v_fma_f32 v0, -0.5, v71, v16
	v_fma_f32 v1, -0.5, v46, v17
	v_mov_b32_e32 v71, v81
	s_delay_alu instid0(VALU_DEP_3) | instskip(NEXT) | instid1(VALU_DEP_3)
	v_dual_mov_b32 v171, v87 :: v_dual_fmamk_f32 v2, v29, 0xbf5db3d7, v0
	v_dual_fmamk_f32 v3, v73, 0x3f5db3d7, v1 :: v_dual_fmac_f32 v0, 0x3f5db3d7, v29
	v_fmac_f32_e32 v1, 0xbf5db3d7, v73
	s_waitcnt vmcnt(0)
	ds_store_2addr_b64 v4, v[20:21], v[2:3] offset1:1
	ds_store_b64 v4, v[0:1] offset:16
	scratch_load_b32 v2, off, off offset:288 ; 4-byte Folded Reload
	v_fmamk_f32 v0, v44, 0xbf5db3d7, v18
	v_dual_fmamk_f32 v1, v79, 0x3f5db3d7, v19 :: v_dual_fmac_f32 v18, 0x3f5db3d7, v44
	v_fmac_f32_e32 v19, 0xbf5db3d7, v79
	s_waitcnt vmcnt(0)
	ds_store_2addr_b64 v2, v[22:23], v[0:1] offset1:1
	ds_store_b64 v2, v[18:19] offset:16
	s_waitcnt lgkmcnt(0)
	s_barrier
	buffer_gl0_inv
	scratch_load_b128 v[9:12], off, off offset:308 ; 16-byte Folded Reload
	ds_load_2addr_b64 v[0:3], v86 offset0:56 offset1:164
	ds_load_2addr_b64 v[4:7], v88 offset0:112 offset1:220
	s_waitcnt vmcnt(0) lgkmcnt(1)
	v_mul_f32_e32 v8, v10, v1
	s_delay_alu instid0(VALU_DEP_1) | instskip(SKIP_3) | instid1(VALU_DEP_2)
	v_fmac_f32_e32 v8, v9, v0
	v_mul_f32_e32 v0, v10, v0
	s_waitcnt lgkmcnt(0)
	v_mul_f32_e32 v10, v12, v5
	v_fma_f32 v9, v9, v1, -v0
	v_mul_f32_e32 v0, v12, v4
	scratch_load_b128 v[12:15], off, off offset:292 ; 16-byte Folded Reload
	v_fmac_f32_e32 v10, v11, v4
	v_fma_f32 v11, v11, v5, -v0
	s_delay_alu instid0(VALU_DEP_1) | instskip(SKIP_4) | instid1(VALU_DEP_3)
	v_dual_sub_f32 v61, v8, v10 :: v_dual_sub_f32 v60, v9, v11
	s_waitcnt vmcnt(0)
	v_mul_f32_e32 v0, v13, v2
	v_mul_f32_e32 v24, v13, v3
	;; [unrolled: 1-line block ×3, first 2 shown]
	v_fma_f32 v25, v12, v3, -v0
	v_mul_f32_e32 v0, v15, v6
	s_delay_alu instid0(VALU_DEP_4) | instskip(NEXT) | instid1(VALU_DEP_4)
	v_fmac_f32_e32 v24, v12, v2
	v_fmac_f32_e32 v26, v14, v6
	s_delay_alu instid0(VALU_DEP_3)
	v_fma_f32 v27, v14, v7, -v0
	scratch_load_b128 v[12:15], off, off offset:540 ; 16-byte Folded Reload
	ds_load_2addr_b64 v[0:3], v87 offset0:16 offset1:124
	ds_load_2addr_b64 v[4:7], v85 offset0:72 offset1:180
	s_waitcnt vmcnt(0) lgkmcnt(1)
	v_mul_f32_e32 v28, v13, v1
	s_waitcnt lgkmcnt(0)
	v_mul_f32_e32 v30, v15, v5
	s_delay_alu instid0(VALU_DEP_2) | instskip(SKIP_1) | instid1(VALU_DEP_3)
	v_fmac_f32_e32 v28, v12, v0
	v_mul_f32_e32 v0, v13, v0
	v_fmac_f32_e32 v30, v14, v4
	s_delay_alu instid0(VALU_DEP_2) | instskip(SKIP_1) | instid1(VALU_DEP_1)
	v_fma_f32 v29, v12, v1, -v0
	v_mul_f32_e32 v0, v15, v4
	v_fma_f32 v31, v14, v5, -v0
	scratch_load_b128 v[12:15], off, off offset:364 ; 16-byte Folded Reload
	s_waitcnt vmcnt(0)
	v_mul_f32_e32 v0, v13, v2
	v_mul_f32_e32 v32, v13, v3
	;; [unrolled: 1-line block ×3, first 2 shown]
	s_delay_alu instid0(VALU_DEP_3) | instskip(SKIP_1) | instid1(VALU_DEP_4)
	v_fma_f32 v33, v12, v3, -v0
	v_mul_f32_e32 v0, v15, v6
	v_fmac_f32_e32 v32, v12, v2
	s_delay_alu instid0(VALU_DEP_4) | instskip(NEXT) | instid1(VALU_DEP_3)
	v_fmac_f32_e32 v34, v14, v6
	v_fma_f32 v35, v14, v7, -v0
	scratch_load_b128 v[12:15], off, off offset:556 ; 16-byte Folded Reload
	ds_load_2addr_b64 v[0:3], v83 offset0:104 offset1:212
	ds_load_2addr_b64 v[4:7], v84 offset0:32 offset1:140
	v_mov_b32_e32 v83, v84
	s_waitcnt lgkmcnt(1)
	v_mul_f32_e32 v40, v252, v3
	s_waitcnt lgkmcnt(0)
	v_mul_f32_e32 v42, v254, v7
	s_delay_alu instid0(VALU_DEP_2) | instskip(NEXT) | instid1(VALU_DEP_2)
	v_fmac_f32_e32 v40, v251, v2
	v_fmac_f32_e32 v42, v253, v6
	s_waitcnt vmcnt(0)
	v_mul_f32_e32 v36, v13, v1
	v_mul_f32_e32 v38, v15, v5
	s_delay_alu instid0(VALU_DEP_2) | instskip(SKIP_1) | instid1(VALU_DEP_3)
	v_fmac_f32_e32 v36, v12, v0
	v_mul_f32_e32 v0, v13, v0
	v_fmac_f32_e32 v38, v14, v4
	s_delay_alu instid0(VALU_DEP_2) | instskip(SKIP_1) | instid1(VALU_DEP_1)
	v_fma_f32 v37, v12, v1, -v0
	v_mul_f32_e32 v0, v15, v4
	v_fma_f32 v39, v14, v5, -v0
	v_mul_f32_e32 v0, v252, v2
	s_delay_alu instid0(VALU_DEP_1) | instskip(SKIP_1) | instid1(VALU_DEP_1)
	v_fma_f32 v41, v251, v3, -v0
	v_mul_f32_e32 v0, v254, v6
	v_fma_f32 v43, v253, v7, -v0
	ds_load_2addr_b64 v[0:3], v81 offset0:64 offset1:172
	ds_load_2addr_b64 v[4:7], v82 offset0:120 offset1:228
	s_waitcnt lgkmcnt(1)
	v_dual_mov_b32 v81, v82 :: v_dual_mul_f32 v44, v233, v1
	v_mul_f32_e32 v48, v237, v3
	s_waitcnt lgkmcnt(0)
	v_mul_f32_e32 v46, v235, v5
	v_mul_f32_e32 v50, v239, v7
	v_fmac_f32_e32 v44, v232, v0
	v_mul_f32_e32 v0, v233, v0
	v_fmac_f32_e32 v48, v236, v2
	v_fmac_f32_e32 v46, v234, v4
	;; [unrolled: 1-line block ×3, first 2 shown]
	s_delay_alu instid0(VALU_DEP_4) | instskip(SKIP_1) | instid1(VALU_DEP_1)
	v_fma_f32 v45, v232, v1, -v0
	v_mul_f32_e32 v0, v235, v4
	v_fma_f32 v47, v234, v5, -v0
	v_mul_f32_e32 v0, v237, v2
	s_delay_alu instid0(VALU_DEP_1) | instskip(SKIP_1) | instid1(VALU_DEP_1)
	v_fma_f32 v49, v236, v3, -v0
	v_mul_f32_e32 v0, v239, v6
	v_fma_f32 v51, v238, v7, -v0
	ds_load_2addr_b64 v[0:3], v80 offset0:24 offset1:132
	ds_load_2addr_b64 v[4:7], v89 offset0:80 offset1:188
	s_waitcnt lgkmcnt(1)
	v_mul_f32_e32 v52, v212, v1
	v_mul_f32_e32 v56, v216, v3
	s_waitcnt lgkmcnt(0)
	v_mul_f32_e32 v54, v214, v5
	v_mul_f32_e32 v58, v218, v7
	v_fmac_f32_e32 v52, v211, v0
	v_mul_f32_e32 v0, v212, v0
	v_fmac_f32_e32 v56, v215, v2
	v_fmac_f32_e32 v54, v213, v4
	;; [unrolled: 1-line block ×3, first 2 shown]
	s_delay_alu instid0(VALU_DEP_4) | instskip(SKIP_1) | instid1(VALU_DEP_1)
	v_fma_f32 v53, v211, v1, -v0
	v_mul_f32_e32 v0, v214, v4
	v_fma_f32 v55, v213, v5, -v0
	v_mul_f32_e32 v0, v216, v2
	s_delay_alu instid0(VALU_DEP_1) | instskip(SKIP_1) | instid1(VALU_DEP_1)
	v_fma_f32 v57, v215, v3, -v0
	v_mul_f32_e32 v0, v218, v6
	v_fma_f32 v59, v217, v7, -v0
	ds_load_2addr_b64 v[0:3], v178 offset1:108
	s_waitcnt lgkmcnt(0)
	v_dual_add_f32 v4, v0, v8 :: v_dual_add_f32 v5, v1, v9
	s_delay_alu instid0(VALU_DEP_1) | instskip(SKIP_1) | instid1(VALU_DEP_1)
	v_dual_add_f32 v20, v4, v10 :: v_dual_add_f32 v21, v5, v11
	v_dual_add_f32 v4, v9, v11 :: v_dual_add_f32 v5, v8, v10
	v_fma_f32 v1, -0.5, v4, v1
	s_delay_alu instid0(VALU_DEP_2)
	v_fma_f32 v0, -0.5, v5, v0
	ds_load_2addr_b64 v[4:7], v90 offset0:88 offset1:196
	ds_load_2addr_b64 v[8:11], v225 offset0:48 offset1:156
	ds_load_2addr_b64 v[12:15], v91 offset0:136 offset1:244
	ds_load_2addr_b64 v[16:19], v224 offset0:96 offset1:204
	s_waitcnt lgkmcnt(0)
	s_barrier
	buffer_gl0_inv
	scratch_load_b32 v62, off, off offset:324 ; 4-byte Folded Reload
	v_fmamk_f32 v22, v60, 0xbf5db3d7, v0
	v_dual_fmamk_f32 v23, v61, 0x3f5db3d7, v1 :: v_dual_fmac_f32 v0, 0x3f5db3d7, v60
	v_fmac_f32_e32 v1, 0xbf5db3d7, v61
	s_waitcnt vmcnt(0)
	ds_store_2addr_b64 v62, v[20:21], v[22:23] offset1:3
	ds_store_b64 v62, v[0:1] offset:48
	v_dual_add_f32 v0, v24, v26 :: v_dual_add_f32 v1, v2, v24
	v_sub_f32_e32 v23, v24, v26
	scratch_load_b32 v24, off, off offset:328 ; 4-byte Folded Reload
	v_add_f32_e32 v20, v3, v25
	v_fma_f32 v2, -0.5, v0, v2
	v_add_f32_e32 v0, v1, v26
	v_sub_f32_e32 v22, v25, v27
	s_delay_alu instid0(VALU_DEP_4) | instskip(SKIP_1) | instid1(VALU_DEP_1)
	v_add_f32_e32 v1, v20, v27
	v_add_f32_e32 v20, v25, v27
	v_dual_fmac_f32 v3, -0.5, v20 :: v_dual_fmamk_f32 v20, v22, 0xbf5db3d7, v2
	v_fmac_f32_e32 v2, 0x3f5db3d7, v22
	scratch_load_b32 v22, off, off offset:336 ; 4-byte Folded Reload
	v_fmamk_f32 v21, v23, 0x3f5db3d7, v3
	v_fmac_f32_e32 v3, 0xbf5db3d7, v23
	s_waitcnt vmcnt(1)
	ds_store_b64 v24, v[2:3] offset:48
	v_add_f32_e32 v2, v28, v30
	ds_store_2addr_b64 v24, v[0:1], v[20:21] offset1:3
	v_sub_f32_e32 v20, v29, v31
	v_dual_add_f32 v0, v4, v28 :: v_dual_add_f32 v3, v29, v31
	v_fma_f32 v2, -0.5, v2, v4
	v_add_f32_e32 v1, v5, v29
	v_sub_f32_e32 v21, v28, v30
	s_delay_alu instid0(VALU_DEP_4)
	v_add_f32_e32 v0, v0, v30
	v_fma_f32 v3, -0.5, v3, v5
	v_fmamk_f32 v4, v20, 0xbf5db3d7, v2
	v_fmac_f32_e32 v2, 0x3f5db3d7, v20
	scratch_load_b32 v20, off, off offset:340 ; 4-byte Folded Reload
	v_add_f32_e32 v1, v1, v31
	v_fmamk_f32 v5, v21, 0x3f5db3d7, v3
	v_fmac_f32_e32 v3, 0xbf5db3d7, v21
	s_waitcnt vmcnt(1)
	ds_store_2addr_b64 v22, v[0:1], v[4:5] offset1:3
	ds_store_b64 v22, v[2:3] offset:48
	v_dual_add_f32 v0, v32, v34 :: v_dual_add_f32 v1, v6, v32
	v_add_f32_e32 v2, v7, v33
	v_dual_sub_f32 v4, v33, v35 :: v_dual_sub_f32 v5, v32, v34
	s_delay_alu instid0(VALU_DEP_3) | instskip(NEXT) | instid1(VALU_DEP_3)
	v_fma_f32 v6, -0.5, v0, v6
	v_dual_add_f32 v0, v1, v34 :: v_dual_add_f32 v1, v2, v35
	v_add_f32_e32 v2, v33, v35
	s_delay_alu instid0(VALU_DEP_1) | instskip(NEXT) | instid1(VALU_DEP_1)
	v_dual_fmac_f32 v7, -0.5, v2 :: v_dual_fmamk_f32 v2, v4, 0xbf5db3d7, v6
	v_dual_fmac_f32 v6, 0x3f5db3d7, v4 :: v_dual_fmamk_f32 v3, v5, 0x3f5db3d7, v7
	v_fmac_f32_e32 v7, 0xbf5db3d7, v5
	s_waitcnt vmcnt(0)
	ds_store_2addr_b64 v20, v[0:1], v[2:3] offset1:3
	v_add_f32_e32 v2, v36, v38
	v_add_f32_e32 v0, v8, v36
	ds_store_b64 v20, v[6:7] offset:48
	v_sub_f32_e32 v6, v37, v39
	v_add_f32_e32 v3, v37, v39
	v_fma_f32 v2, -0.5, v2, v8
	scratch_load_b32 v8, off, off offset:332 ; 4-byte Folded Reload
	v_add_f32_e32 v1, v9, v37
	v_sub_f32_e32 v7, v36, v38
	v_fma_f32 v3, -0.5, v3, v9
	v_fmamk_f32 v4, v6, 0xbf5db3d7, v2
	v_fmac_f32_e32 v2, 0x3f5db3d7, v6
	scratch_load_b32 v6, off, off offset:344 ; 4-byte Folded Reload
	v_dual_add_f32 v0, v0, v38 :: v_dual_add_f32 v1, v1, v39
	v_fmamk_f32 v5, v7, 0x3f5db3d7, v3
	v_fmac_f32_e32 v3, 0xbf5db3d7, v7
	v_sub_f32_e32 v7, v44, v46
	s_waitcnt vmcnt(1)
	ds_store_2addr_b64 v8, v[0:1], v[4:5] offset1:3
	ds_store_b64 v8, v[2:3] offset:48
	v_dual_add_f32 v0, v40, v42 :: v_dual_add_f32 v1, v10, v40
	v_add_f32_e32 v2, v11, v41
	v_dual_sub_f32 v4, v41, v43 :: v_dual_sub_f32 v5, v40, v42
	s_delay_alu instid0(VALU_DEP_3) | instskip(NEXT) | instid1(VALU_DEP_3)
	v_fma_f32 v10, -0.5, v0, v10
	v_dual_add_f32 v0, v1, v42 :: v_dual_add_f32 v1, v2, v43
	v_add_f32_e32 v2, v41, v43
	scratch_load_b32 v8, off, off offset:348 ; 4-byte Folded Reload
	v_dual_fmac_f32 v11, -0.5, v2 :: v_dual_fmamk_f32 v2, v4, 0xbf5db3d7, v10
	s_delay_alu instid0(VALU_DEP_1)
	v_dual_fmac_f32 v10, 0x3f5db3d7, v4 :: v_dual_fmamk_f32 v3, v5, 0x3f5db3d7, v11
	v_fmac_f32_e32 v11, 0xbf5db3d7, v5
	s_waitcnt vmcnt(1)
	ds_store_2addr_b64 v6, v[0:1], v[2:3] offset1:3
	v_add_f32_e32 v2, v44, v46
	ds_store_b64 v6, v[10:11] offset:48
	v_sub_f32_e32 v6, v45, v47
	v_dual_add_f32 v3, v45, v47 :: v_dual_add_f32 v0, v12, v44
	v_fma_f32 v2, -0.5, v2, v12
	v_add_f32_e32 v1, v13, v45
	s_delay_alu instid0(VALU_DEP_3) | instskip(NEXT) | instid1(VALU_DEP_4)
	v_fma_f32 v3, -0.5, v3, v13
	v_add_f32_e32 v0, v0, v46
	s_delay_alu instid0(VALU_DEP_4)
	v_fmamk_f32 v4, v6, 0xbf5db3d7, v2
	v_fmac_f32_e32 v2, 0x3f5db3d7, v6
	scratch_load_b32 v6, off, off offset:356 ; 4-byte Folded Reload
	v_add_f32_e32 v1, v1, v47
	v_fmamk_f32 v5, v7, 0x3f5db3d7, v3
	v_fmac_f32_e32 v3, 0xbf5db3d7, v7
	v_sub_f32_e32 v7, v52, v54
	s_waitcnt vmcnt(1)
	ds_store_2addr_b64 v8, v[0:1], v[4:5] offset1:3
	ds_store_b64 v8, v[2:3] offset:48
	v_dual_add_f32 v0, v48, v50 :: v_dual_add_f32 v1, v14, v48
	v_add_f32_e32 v2, v15, v49
	v_dual_sub_f32 v4, v49, v51 :: v_dual_sub_f32 v5, v48, v50
	s_delay_alu instid0(VALU_DEP_3) | instskip(NEXT) | instid1(VALU_DEP_3)
	v_fma_f32 v14, -0.5, v0, v14
	v_dual_add_f32 v0, v1, v50 :: v_dual_add_f32 v1, v2, v51
	v_add_f32_e32 v2, v49, v51
	scratch_load_b32 v8, off, off offset:360 ; 4-byte Folded Reload
	v_dual_fmac_f32 v15, -0.5, v2 :: v_dual_fmamk_f32 v2, v4, 0xbf5db3d7, v14
	s_delay_alu instid0(VALU_DEP_1)
	v_dual_fmac_f32 v14, 0x3f5db3d7, v4 :: v_dual_fmamk_f32 v3, v5, 0x3f5db3d7, v15
	v_fmac_f32_e32 v15, 0xbf5db3d7, v5
	s_waitcnt vmcnt(1)
	ds_store_2addr_b64 v6, v[0:1], v[2:3] offset1:3
	v_add_f32_e32 v2, v52, v54
	ds_store_b64 v6, v[14:15] offset:48
	v_sub_f32_e32 v6, v53, v55
	v_dual_add_f32 v3, v53, v55 :: v_dual_add_f32 v0, v16, v52
	v_fma_f32 v2, -0.5, v2, v16
	v_add_f32_e32 v1, v17, v53
	s_delay_alu instid0(VALU_DEP_3) | instskip(NEXT) | instid1(VALU_DEP_4)
	v_fma_f32 v3, -0.5, v3, v17
	v_add_f32_e32 v0, v0, v54
	s_delay_alu instid0(VALU_DEP_4)
	v_fmamk_f32 v4, v6, 0xbf5db3d7, v2
	v_fmac_f32_e32 v2, 0x3f5db3d7, v6
	scratch_load_b32 v6, off, off offset:352 ; 4-byte Folded Reload
	v_add_f32_e32 v1, v1, v55
	v_fmamk_f32 v5, v7, 0x3f5db3d7, v3
	v_fmac_f32_e32 v3, 0xbf5db3d7, v7
	s_waitcnt vmcnt(1)
	ds_store_2addr_b64 v8, v[0:1], v[4:5] offset1:3
	ds_store_b64 v8, v[2:3] offset:48
	v_dual_add_f32 v0, v56, v58 :: v_dual_add_f32 v1, v18, v56
	v_add_f32_e32 v2, v19, v57
	v_dual_sub_f32 v4, v57, v59 :: v_dual_sub_f32 v5, v56, v58
	s_delay_alu instid0(VALU_DEP_3) | instskip(NEXT) | instid1(VALU_DEP_3)
	v_fma_f32 v18, -0.5, v0, v18
	v_dual_add_f32 v0, v1, v58 :: v_dual_add_f32 v1, v2, v59
	v_add_f32_e32 v2, v57, v59
	s_delay_alu instid0(VALU_DEP_1) | instskip(NEXT) | instid1(VALU_DEP_1)
	v_dual_fmac_f32 v19, -0.5, v2 :: v_dual_fmamk_f32 v2, v4, 0xbf5db3d7, v18
	v_dual_fmac_f32 v18, 0x3f5db3d7, v4 :: v_dual_fmamk_f32 v3, v5, 0x3f5db3d7, v19
	v_fmac_f32_e32 v19, 0xbf5db3d7, v5
	s_waitcnt vmcnt(0)
	ds_store_2addr_b64 v6, v[0:1], v[2:3] offset1:3
	ds_store_b64 v6, v[18:19] offset:48
	s_waitcnt lgkmcnt(0)
	s_barrier
	buffer_gl0_inv
	scratch_load_b64 v[4:5], off, off offset:468 ; 8-byte Folded Reload
	ds_load_2addr_b64 v[0:3], v89 offset0:80 offset1:188
	s_waitcnt vmcnt(0) lgkmcnt(0)
	v_mul_f32_e32 v24, v5, v1
	s_delay_alu instid0(VALU_DEP_1) | instskip(SKIP_1) | instid1(VALU_DEP_1)
	v_fmac_f32_e32 v24, v4, v0
	v_mul_f32_e32 v0, v5, v0
	v_fma_f32 v25, v4, v1, -v0
	scratch_load_b64 v[4:5], off, off offset:448 ; 8-byte Folded Reload
	s_waitcnt vmcnt(0)
	v_mul_f32_e32 v7, v5, v3
	v_mul_f32_e32 v0, v5, v2
	s_delay_alu instid0(VALU_DEP_2) | instskip(NEXT) | instid1(VALU_DEP_2)
	v_fmac_f32_e32 v7, v4, v2
	v_fma_f32 v8, v4, v3, -v0
	scratch_load_b64 v[4:5], off, off offset:440 ; 8-byte Folded Reload
	ds_load_2addr_b64 v[0:3], v82 offset0:120 offset1:228
	s_waitcnt lgkmcnt(0)
	v_mul_f32_e32 v6, v135, v1
	s_delay_alu instid0(VALU_DEP_1) | instskip(SKIP_1) | instid1(VALU_DEP_1)
	v_fmac_f32_e32 v6, v134, v0
	v_mul_f32_e32 v0, v135, v0
	v_fma_f32 v11, v134, v1, -v0
	s_waitcnt vmcnt(0)
	v_mul_f32_e32 v168, v5, v3
	s_delay_alu instid0(VALU_DEP_1) | instskip(SKIP_1) | instid1(VALU_DEP_1)
	v_fmac_f32_e32 v168, v4, v2
	v_mul_f32_e32 v2, v5, v2
	v_fma_f32 v169, v4, v3, -v2
	ds_load_2addr_b64 v[0:3], v85 offset0:72 offset1:180
	s_waitcnt lgkmcnt(0)
	v_mul_f32_e32 v9, v133, v3
	v_mul_f32_e32 v27, v109, v1
	s_delay_alu instid0(VALU_DEP_2) | instskip(NEXT) | instid1(VALU_DEP_2)
	v_fmac_f32_e32 v9, v132, v2
	v_dual_mul_f32 v2, v133, v2 :: v_dual_fmac_f32 v27, v108, v0
	v_mul_f32_e32 v0, v109, v0
	s_delay_alu instid0(VALU_DEP_2) | instskip(NEXT) | instid1(VALU_DEP_2)
	v_fma_f32 v10, v132, v3, -v2
	v_fma_f32 v28, v108, v1, -v0
	ds_load_2addr_b64 v[0:3], v84 offset0:32 offset1:140
	s_waitcnt lgkmcnt(0)
	v_mul_f32_e32 v26, v111, v3
	v_mul_f32_e32 v108, v95, v1
	s_delay_alu instid0(VALU_DEP_2) | instskip(SKIP_1) | instid1(VALU_DEP_3)
	v_fmac_f32_e32 v26, v110, v2
	v_mul_f32_e32 v2, v111, v2
	v_fmac_f32_e32 v108, v94, v0
	v_mul_f32_e32 v0, v95, v0
	s_delay_alu instid0(VALU_DEP_3) | instskip(SKIP_1) | instid1(VALU_DEP_3)
	v_fma_f32 v29, v110, v3, -v2
	v_mov_b32_e32 v86, v225
	v_fma_f32 v95, v94, v1, -v0
	ds_load_2addr_b64 v[0:3], v88 offset0:112 offset1:220
	v_dual_mov_b32 v225, v91 :: v_dual_mov_b32 v82, v86
	s_waitcnt lgkmcnt(0)
	v_mul_f32_e32 v94, v93, v3
	v_mul_f32_e32 v12, v131, v1
	s_delay_alu instid0(VALU_DEP_2) | instskip(SKIP_1) | instid1(VALU_DEP_3)
	v_fmac_f32_e32 v94, v92, v2
	v_mul_f32_e32 v2, v93, v2
	v_fmac_f32_e32 v12, v130, v0
	v_mul_f32_e32 v0, v131, v0
	s_delay_alu instid0(VALU_DEP_4) | instskip(NEXT) | instid1(VALU_DEP_4)
	v_sub_f32_e32 v55, v94, v168
	v_fma_f32 v92, v92, v3, -v2
	s_delay_alu instid0(VALU_DEP_3)
	v_fma_f32 v13, v130, v1, -v0
	ds_load_2addr_b64 v[0:3], v71 offset0:64 offset1:172
	v_mov_b32_e32 v130, v90
	v_sub_f32_e32 v58, v92, v169
	s_waitcnt lgkmcnt(0)
	v_dual_mul_f32 v14, v129, v3 :: v_dual_mul_f32 v31, v180, v1
	s_delay_alu instid0(VALU_DEP_1) | instskip(NEXT) | instid1(VALU_DEP_2)
	v_fmac_f32_e32 v14, v128, v2
	v_dual_mul_f32 v2, v129, v2 :: v_dual_fmac_f32 v31, v179, v0
	v_mul_f32_e32 v0, v180, v0
	s_delay_alu instid0(VALU_DEP_2) | instskip(NEXT) | instid1(VALU_DEP_2)
	v_fma_f32 v15, v128, v3, -v2
	v_fma_f32 v32, v179, v1, -v0
	ds_load_2addr_b64 v[0:3], v80 offset0:24 offset1:132
	s_waitcnt lgkmcnt(0)
	v_mul_f32_e32 v30, v182, v3
	s_delay_alu instid0(VALU_DEP_1) | instskip(NEXT) | instid1(VALU_DEP_1)
	v_dual_mul_f32 v111, v190, v1 :: v_dual_fmac_f32 v30, v181, v2
	v_dual_mul_f32 v2, v182, v2 :: v_dual_fmac_f32 v111, v189, v0
	v_mul_f32_e32 v0, v190, v0
	s_delay_alu instid0(VALU_DEP_2) | instskip(NEXT) | instid1(VALU_DEP_2)
	v_fma_f32 v33, v181, v3, -v2
	v_fma_f32 v93, v189, v1, -v0
	ds_load_2addr_b64 v[0:3], v170 offset0:104 offset1:212
	v_sub_f32_e32 v52, v93, v95
	s_waitcnt lgkmcnt(0)
	v_dual_mul_f32 v109, v188, v3 :: v_dual_mul_f32 v16, v99, v1
	s_delay_alu instid0(VALU_DEP_1) | instskip(SKIP_1) | instid1(VALU_DEP_3)
	v_fmac_f32_e32 v109, v187, v2
	v_mul_f32_e32 v2, v188, v2
	v_fmac_f32_e32 v16, v98, v0
	v_mul_f32_e32 v0, v99, v0
	s_delay_alu instid0(VALU_DEP_4) | instskip(NEXT) | instid1(VALU_DEP_4)
	v_sub_f32_e32 v64, v109, v94
	v_fma_f32 v110, v187, v3, -v2
	s_delay_alu instid0(VALU_DEP_3)
	v_fma_f32 v19, v98, v1, -v0
	ds_load_2addr_b64 v[0:3], v226 offset0:56 offset1:164
	v_sub_f32_e32 v65, v110, v92
	s_waitcnt lgkmcnt(0)
	v_mul_f32_e32 v17, v97, v3
	v_mul_f32_e32 v35, v192, v1
	s_delay_alu instid0(VALU_DEP_2) | instskip(NEXT) | instid1(VALU_DEP_2)
	v_fmac_f32_e32 v17, v96, v2
	v_dual_mul_f32 v2, v97, v2 :: v_dual_fmac_f32 v35, v191, v0
	v_mul_f32_e32 v0, v192, v0
	s_delay_alu instid0(VALU_DEP_2) | instskip(NEXT) | instid1(VALU_DEP_2)
	v_fma_f32 v18, v96, v3, -v2
	v_fma_f32 v36, v191, v1, -v0
	ds_load_2addr_b64 v[0:3], v87 offset0:16 offset1:124
	s_waitcnt lgkmcnt(0)
	v_mul_f32_e32 v34, v194, v3
	s_delay_alu instid0(VALU_DEP_1) | instskip(NEXT) | instid1(VALU_DEP_1)
	v_dual_mul_f32 v99, v206, v1 :: v_dual_fmac_f32 v34, v193, v2
	v_dual_mul_f32 v2, v194, v2 :: v_dual_fmac_f32 v99, v205, v0
	v_mul_f32_e32 v0, v206, v0
	s_delay_alu instid0(VALU_DEP_3) | instskip(NEXT) | instid1(VALU_DEP_3)
	v_sub_f32_e32 v63, v34, v30
	v_fma_f32 v39, v193, v3, -v2
	s_delay_alu instid0(VALU_DEP_4) | instskip(NEXT) | instid1(VALU_DEP_4)
	v_sub_f32_e32 v85, v99, v111
	v_fma_f32 v98, v205, v1, -v0
	ds_load_2addr_b64 v[0:3], v224 offset0:96 offset1:204
	v_sub_f32_e32 v60, v39, v33
	v_add_f32_e32 v47, v98, v93
	s_waitcnt lgkmcnt(0)
	v_dual_sub_f32 v79, v98, v93 :: v_dual_mul_f32 v96, v204, v3
	v_mul_f32_e32 v22, v175, v1
	s_delay_alu instid0(VALU_DEP_2) | instskip(SKIP_1) | instid1(VALU_DEP_3)
	v_fmac_f32_e32 v96, v203, v2
	v_mul_f32_e32 v2, v204, v2
	v_fmac_f32_e32 v22, v174, v0
	v_mul_f32_e32 v0, v175, v0
	s_delay_alu instid0(VALU_DEP_4) | instskip(NEXT) | instid1(VALU_DEP_4)
	v_sub_f32_e32 v66, v96, v168
	v_fma_f32 v97, v203, v3, -v2
	v_add_f32_e32 v54, v96, v168
	s_delay_alu instid0(VALU_DEP_4)
	v_fma_f32 v23, v174, v1, -v0
	ds_load_2addr_b64 v[0:3], v86 offset0:48 offset1:156
	v_sub_f32_e32 v53, v109, v96
	v_sub_f32_e32 v67, v97, v169
	v_add_f32_e32 v57, v97, v169
	v_sub_f32_e32 v56, v110, v97
	s_waitcnt lgkmcnt(0)
	v_dual_mul_f32 v20, v173, v3 :: v_dual_mul_f32 v37, v200, v1
	s_delay_alu instid0(VALU_DEP_1) | instskip(NEXT) | instid1(VALU_DEP_2)
	v_fmac_f32_e32 v20, v172, v2
	v_dual_mul_f32 v2, v173, v2 :: v_dual_fmac_f32 v37, v199, v0
	v_mul_f32_e32 v0, v200, v0
	s_delay_alu instid0(VALU_DEP_2) | instskip(NEXT) | instid1(VALU_DEP_2)
	v_fma_f32 v21, v172, v3, -v2
	v_fma_f32 v38, v199, v1, -v0
	ds_load_2addr_b64 v[0:3], v91 offset0:136 offset1:244
	s_waitcnt lgkmcnt(0)
	v_mul_f32_e32 v48, v202, v3
	v_mul_f32_e32 v128, v210, v1
	s_delay_alu instid0(VALU_DEP_2) | instskip(SKIP_1) | instid1(VALU_DEP_3)
	v_fmac_f32_e32 v48, v201, v2
	v_mul_f32_e32 v2, v202, v2
	v_fmac_f32_e32 v128, v209, v0
	v_mul_f32_e32 v0, v210, v0
	s_delay_alu instid0(VALU_DEP_4) | instskip(NEXT) | instid1(VALU_DEP_4)
	v_sub_f32_e32 v62, v48, v26
	v_fma_f32 v49, v201, v3, -v2
	s_delay_alu instid0(VALU_DEP_4) | instskip(NEXT) | instid1(VALU_DEP_4)
	v_sub_f32_e32 v86, v128, v108
	v_fma_f32 v129, v209, v1, -v0
	ds_load_2addr_b64 v[0:3], v90 offset0:88 offset1:196
	v_sub_f32_e32 v84, v129, v95
	s_waitcnt lgkmcnt(0)
	v_mul_f32_e32 v90, v208, v3
	s_delay_alu instid0(VALU_DEP_1) | instskip(NEXT) | instid1(VALU_DEP_1)
	v_fmac_f32_e32 v90, v207, v2
	v_dual_mul_f32 v2, v208, v2 :: v_dual_add_f32 v45, v90, v96
	s_delay_alu instid0(VALU_DEP_1) | instskip(SKIP_2) | instid1(VALU_DEP_4)
	v_fma_f32 v91, v207, v3, -v2
	v_sub_f32_e32 v2, v128, v99
	v_sub_f32_e32 v3, v108, v111
	v_add_f32_e32 v45, v45, v109
	s_delay_alu instid0(VALU_DEP_4) | instskip(NEXT) | instid1(VALU_DEP_3)
	v_add_f32_e32 v46, v91, v97
	v_add_f32_e32 v40, v2, v3
	v_dual_sub_f32 v2, v129, v98 :: v_dual_sub_f32 v3, v95, v93
	s_delay_alu instid0(VALU_DEP_3) | instskip(SKIP_1) | instid1(VALU_DEP_3)
	v_add_f32_e32 v46, v46, v110
	v_add_f32_e32 v45, v45, v94
	v_dual_add_f32 v41, v2, v3 :: v_dual_sub_f32 v2, v96, v109
	s_delay_alu instid0(VALU_DEP_3) | instskip(NEXT) | instid1(VALU_DEP_1)
	v_dual_sub_f32 v3, v168, v94 :: v_dual_add_f32 v46, v46, v92
	v_add_f32_e32 v42, v2, v3
	v_sub_f32_e32 v2, v97, v110
	v_sub_f32_e32 v3, v169, v92
	s_delay_alu instid0(VALU_DEP_4) | instskip(NEXT) | instid1(VALU_DEP_2)
	v_add_f32_e32 v89, v46, v169
	v_dual_add_f32 v51, v2, v3 :: v_dual_add_f32 v2, v109, v94
	s_delay_alu instid0(VALU_DEP_1) | instskip(SKIP_1) | instid1(VALU_DEP_2)
	v_fma_f32 v43, -0.5, v2, v90
	v_add_f32_e32 v2, v110, v92
	v_dual_fmac_f32 v90, -0.5, v54 :: v_dual_fmamk_f32 v3, v67, 0xbf737871, v43
	s_delay_alu instid0(VALU_DEP_2) | instskip(SKIP_2) | instid1(VALU_DEP_4)
	v_fma_f32 v50, -0.5, v2, v91
	v_fmac_f32_e32 v91, -0.5, v57
	v_fmac_f32_e32 v43, 0x3f737871, v67
	v_fmac_f32_e32 v3, 0xbf167918, v65
	s_delay_alu instid0(VALU_DEP_4) | instskip(NEXT) | instid1(VALU_DEP_4)
	v_fmamk_f32 v2, v66, 0x3f737871, v50
	v_fmamk_f32 v54, v64, 0xbf737871, v91
	v_fmac_f32_e32 v91, 0x3f737871, v64
	v_fmac_f32_e32 v50, 0xbf737871, v66
	;; [unrolled: 1-line block ×5, first 2 shown]
	s_delay_alu instid0(VALU_DEP_4) | instskip(SKIP_1) | instid1(VALU_DEP_4)
	v_dual_fmac_f32 v91, 0xbf167918, v66 :: v_dual_fmac_f32 v50, 0xbf167918, v64
	v_fmac_f32_e32 v43, 0x3f167918, v65
	v_fmac_f32_e32 v2, 0x3e9e377a, v51
	s_delay_alu instid0(VALU_DEP_2) | instskip(NEXT) | instid1(VALU_DEP_2)
	v_dual_fmac_f32 v50, 0x3e9e377a, v51 :: v_dual_fmac_f32 v43, 0x3e9e377a, v42
	v_mul_f32_e32 v72, 0xbf167918, v2
	v_dual_mul_f32 v74, 0x3f4f1bbd, v2 :: v_dual_sub_f32 v51, v31, v27
	s_delay_alu instid0(VALU_DEP_3) | instskip(NEXT) | instid1(VALU_DEP_3)
	v_mul_f32_e32 v42, 0xbf167918, v50
	v_fmac_f32_e32 v72, 0x3f4f1bbd, v3
	s_delay_alu instid0(VALU_DEP_3)
	v_fmac_f32_e32 v74, 0x3f167918, v3
	ds_load_2addr_b64 v[2:5], v178 offset1:108
	s_waitcnt lgkmcnt(0)
	s_barrier
	buffer_gl0_inv
	scratch_load_b32 v59, off, off offset:456 ; 4-byte Folded Reload
	v_fmac_f32_e32 v42, 0xbf4f1bbd, v43
	v_add_f32_e32 v44, v2, v128
	v_fma_f32 v75, -0.5, v47, v3
	v_mov_b32_e32 v176, v88
	v_add_f32_e32 v88, v45, v168
	s_delay_alu instid0(VALU_DEP_3) | instskip(NEXT) | instid1(VALU_DEP_1)
	v_dual_add_f32 v44, v44, v99 :: v_dual_fmamk_f32 v77, v86, 0x3f737871, v75
	v_dual_fmac_f32 v75, 0xbf737871, v86 :: v_dual_add_f32 v44, v44, v111
	s_delay_alu instid0(VALU_DEP_2) | instskip(NEXT) | instid1(VALU_DEP_2)
	v_fmac_f32_e32 v77, 0x3f167918, v85
	v_dual_fmac_f32 v75, 0xbf167918, v85 :: v_dual_add_f32 v78, v44, v108
	s_delay_alu instid0(VALU_DEP_2) | instskip(NEXT) | instid1(VALU_DEP_2)
	v_dual_add_f32 v44, v99, v111 :: v_dual_fmac_f32 v77, 0x3e9e377a, v41
	v_fmac_f32_e32 v75, 0x3e9e377a, v41
	s_delay_alu instid0(VALU_DEP_2) | instskip(NEXT) | instid1(VALU_DEP_3)
	v_fma_f32 v73, -0.5, v44, v2
	v_dual_add_f32 v44, v3, v129 :: v_dual_add_f32 v47, v77, v74
	s_delay_alu instid0(VALU_DEP_2) | instskip(NEXT) | instid1(VALU_DEP_2)
	v_fmamk_f32 v76, v84, 0xbf737871, v73
	v_dual_add_f32 v44, v44, v98 :: v_dual_fmac_f32 v73, 0x3f737871, v84
	s_delay_alu instid0(VALU_DEP_2) | instskip(NEXT) | instid1(VALU_DEP_2)
	v_fmac_f32_e32 v76, 0xbf167918, v79
	v_dual_add_f32 v44, v44, v93 :: v_dual_fmac_f32 v73, 0x3f167918, v79
	s_delay_alu instid0(VALU_DEP_1) | instskip(SKIP_1) | instid1(VALU_DEP_3)
	v_dual_fmac_f32 v76, 0x3e9e377a, v40 :: v_dual_add_f32 v87, v44, v95
	v_add_f32_e32 v44, v78, v88
	v_fmac_f32_e32 v73, 0x3e9e377a, v40
	s_delay_alu instid0(VALU_DEP_3) | instskip(NEXT) | instid1(VALU_DEP_2)
	v_dual_add_f32 v46, v76, v72 :: v_dual_add_f32 v45, v87, v89
	v_add_f32_e32 v40, v73, v42
	s_waitcnt vmcnt(0)
	ds_store_2addr_b64 v59, v[44:45], v[46:47] offset1:9
	v_sub_f32_e32 v44, v99, v128
	v_sub_f32_e32 v45, v111, v108
	v_dual_add_f32 v46, v128, v108 :: v_dual_add_f32 v47, v129, v95
	s_delay_alu instid0(VALU_DEP_2) | instskip(SKIP_1) | instid1(VALU_DEP_3)
	v_add_f32_e32 v44, v44, v45
	v_sub_f32_e32 v45, v98, v129
	v_fma_f32 v46, -0.5, v46, v2
	s_delay_alu instid0(VALU_DEP_4) | instskip(NEXT) | instid1(VALU_DEP_3)
	v_fma_f32 v47, -0.5, v47, v3
	v_add_f32_e32 v45, v45, v52
	v_dual_add_f32 v52, v53, v55 :: v_dual_add_f32 v53, v56, v58
	v_fmamk_f32 v55, v65, 0x3f737871, v90
	s_delay_alu instid0(VALU_DEP_4) | instskip(SKIP_1) | instid1(VALU_DEP_4)
	v_dual_fmac_f32 v90, 0xbf737871, v65 :: v_dual_fmamk_f32 v57, v85, 0xbf737871, v47
	v_fmac_f32_e32 v47, 0x3f737871, v85
	v_fmac_f32_e32 v54, 0x3e9e377a, v53
	s_delay_alu instid0(VALU_DEP_4) | instskip(SKIP_2) | instid1(VALU_DEP_4)
	v_fmac_f32_e32 v55, 0xbf167918, v67
	v_fmac_f32_e32 v91, 0x3e9e377a, v53
	v_dual_fmac_f32 v90, 0x3f167918, v67 :: v_dual_fmac_f32 v57, 0x3f167918, v86
	v_mul_f32_e32 v56, 0xbf737871, v54
	s_delay_alu instid0(VALU_DEP_4) | instskip(SKIP_1) | instid1(VALU_DEP_4)
	v_dual_fmac_f32 v55, 0x3e9e377a, v52 :: v_dual_mul_f32 v54, 0x3e9e377a, v54
	v_fmac_f32_e32 v47, 0xbf167918, v86
	v_fmac_f32_e32 v90, 0x3e9e377a, v52
	v_mul_f32_e32 v52, 0xbf737871, v91
	s_delay_alu instid0(VALU_DEP_4)
	v_fmac_f32_e32 v56, 0x3e9e377a, v55
	v_fmac_f32_e32 v54, 0x3f737871, v55
	v_fmamk_f32 v55, v79, 0x3f737871, v46
	v_fmac_f32_e32 v46, 0xbf737871, v79
	v_mul_f32_e32 v53, 0xbe9e377a, v91
	v_fmac_f32_e32 v57, 0x3e9e377a, v45
	v_fmac_f32_e32 v47, 0x3e9e377a, v45
	;; [unrolled: 1-line block ×6, first 2 shown]
	v_add_f32_e32 v3, v57, v54
	v_fmac_f32_e32 v55, 0x3e9e377a, v44
	s_delay_alu instid0(VALU_DEP_3) | instskip(NEXT) | instid1(VALU_DEP_2)
	v_dual_fmac_f32 v46, 0x3e9e377a, v44 :: v_dual_add_f32 v45, v47, v53
	v_add_f32_e32 v2, v55, v56
	s_delay_alu instid0(VALU_DEP_2) | instskip(SKIP_4) | instid1(VALU_DEP_3)
	v_add_f32_e32 v44, v46, v52
	ds_store_2addr_b64 v59, v[2:3], v[44:45] offset0:18 offset1:27
	v_mul_f32_e32 v44, 0xbf4f1bbd, v50
	v_dual_sub_f32 v2, v78, v88 :: v_dual_sub_f32 v3, v87, v89
	v_sub_f32_e32 v50, v35, v24
	v_fmac_f32_e32 v44, 0x3f167918, v43
	s_delay_alu instid0(VALU_DEP_1)
	v_add_f32_e32 v41, v75, v44
	ds_store_2addr_b64 v59, v[40:41], v[2:3] offset0:36 offset1:45
	v_dual_sub_f32 v2, v76, v72 :: v_dual_sub_f32 v3, v77, v74
	v_dual_sub_f32 v40, v55, v56 :: v_dual_sub_f32 v41, v57, v54
	v_add_f32_e32 v57, v34, v30
	ds_store_2addr_b64 v59, v[2:3], v[40:41] offset0:54 offset1:63
	v_dual_sub_f32 v2, v46, v52 :: v_dual_sub_f32 v3, v47, v53
	v_dual_sub_f32 v40, v73, v42 :: v_dual_sub_f32 v41, v75, v44
	v_sub_f32_e32 v52, v36, v25
	v_sub_f32_e32 v53, v32, v28
	v_fma_f32 v57, -0.5, v57, v4
	ds_store_2addr_b64 v59, v[2:3], v[40:41] offset0:72 offset1:81
	v_sub_f32_e32 v2, v48, v34
	v_dual_sub_f32 v3, v26, v30 :: v_dual_add_f32 v40, v37, v35
	v_add_f32_e32 v41, v38, v36
	s_delay_alu instid0(VALU_DEP_2) | instskip(SKIP_1) | instid1(VALU_DEP_4)
	v_dual_sub_f32 v59, v49, v29 :: v_dual_add_f32 v42, v2, v3
	v_sub_f32_e32 v2, v49, v39
	v_dual_sub_f32 v3, v29, v33 :: v_dual_add_f32 v40, v40, v31
	s_delay_alu instid0(VALU_DEP_4) | instskip(NEXT) | instid1(VALU_DEP_4)
	v_add_f32_e32 v41, v41, v32
	v_fmamk_f32 v61, v59, 0xbf737871, v57
	v_fmac_f32_e32 v57, 0x3f737871, v59
	s_delay_alu instid0(VALU_DEP_4) | instskip(SKIP_4) | instid1(VALU_DEP_3)
	v_add_f32_e32 v43, v2, v3
	v_sub_f32_e32 v2, v35, v31
	v_sub_f32_e32 v3, v24, v27
	v_dual_add_f32 v40, v40, v27 :: v_dual_add_f32 v41, v41, v28
	v_fmac_f32_e32 v61, 0xbf167918, v60
	v_dual_fmac_f32 v57, 0x3f167918, v60 :: v_dual_add_f32 v44, v2, v3
	v_sub_f32_e32 v2, v36, v32
	v_sub_f32_e32 v3, v25, v28
	v_dual_add_f32 v66, v40, v24 :: v_dual_add_f32 v67, v41, v25
	v_fmac_f32_e32 v61, 0x3e9e377a, v42
	v_fmac_f32_e32 v57, 0x3e9e377a, v42
	s_delay_alu instid0(VALU_DEP_4) | instskip(SKIP_1) | instid1(VALU_DEP_1)
	v_add_f32_e32 v45, v2, v3
	v_add_f32_e32 v2, v31, v27
	v_fma_f32 v46, -0.5, v2, v37
	v_add_f32_e32 v2, v32, v28
	s_delay_alu instid0(VALU_DEP_2) | instskip(NEXT) | instid1(VALU_DEP_2)
	v_fmamk_f32 v3, v52, 0xbf737871, v46
	v_fma_f32 v47, -0.5, v2, v38
	v_fmac_f32_e32 v46, 0x3f737871, v52
	s_delay_alu instid0(VALU_DEP_3) | instskip(NEXT) | instid1(VALU_DEP_3)
	v_fmac_f32_e32 v3, 0xbf167918, v53
	v_fmamk_f32 v2, v50, 0x3f737871, v47
	v_fmac_f32_e32 v47, 0xbf737871, v50
	s_delay_alu instid0(VALU_DEP_4) | instskip(NEXT) | instid1(VALU_DEP_4)
	v_fmac_f32_e32 v46, 0x3f167918, v53
	v_fmac_f32_e32 v3, 0x3e9e377a, v44
	s_delay_alu instid0(VALU_DEP_4) | instskip(NEXT) | instid1(VALU_DEP_4)
	v_fmac_f32_e32 v2, 0x3f167918, v51
	v_fmac_f32_e32 v47, 0xbf167918, v51
	s_delay_alu instid0(VALU_DEP_4) | instskip(NEXT) | instid1(VALU_DEP_3)
	v_fmac_f32_e32 v46, 0x3e9e377a, v44
	v_fmac_f32_e32 v2, 0x3e9e377a, v45
	s_delay_alu instid0(VALU_DEP_3) | instskip(NEXT) | instid1(VALU_DEP_2)
	v_fmac_f32_e32 v47, 0x3e9e377a, v45
	v_mul_f32_e32 v54, 0xbf167918, v2
	v_dual_mul_f32 v55, 0x3f4f1bbd, v2 :: v_dual_add_f32 v2, v39, v33
	s_delay_alu instid0(VALU_DEP_2) | instskip(NEXT) | instid1(VALU_DEP_2)
	v_fmac_f32_e32 v54, 0x3f4f1bbd, v3
	v_fmac_f32_e32 v55, 0x3f167918, v3
	s_delay_alu instid0(VALU_DEP_3) | instskip(SKIP_1) | instid1(VALU_DEP_4)
	v_fma_f32 v56, -0.5, v2, v5
	v_dual_add_f32 v2, v4, v48 :: v_dual_add_f32 v3, v5, v49
	v_add_f32_e32 v40, v61, v54
	s_delay_alu instid0(VALU_DEP_3) | instskip(NEXT) | instid1(VALU_DEP_3)
	v_fmamk_f32 v64, v62, 0x3f737871, v56
	v_dual_add_f32 v2, v2, v34 :: v_dual_add_f32 v3, v3, v39
	v_fmac_f32_e32 v56, 0xbf737871, v62
	s_delay_alu instid0(VALU_DEP_3) | instskip(NEXT) | instid1(VALU_DEP_3)
	v_fmac_f32_e32 v64, 0x3f167918, v63
	v_dual_add_f32 v2, v2, v30 :: v_dual_add_f32 v3, v3, v33
	s_delay_alu instid0(VALU_DEP_3) | instskip(NEXT) | instid1(VALU_DEP_3)
	v_fmac_f32_e32 v56, 0xbf167918, v63
	v_fmac_f32_e32 v64, 0x3e9e377a, v43
	s_delay_alu instid0(VALU_DEP_3) | instskip(NEXT) | instid1(VALU_DEP_3)
	v_dual_add_f32 v58, v2, v26 :: v_dual_add_f32 v65, v3, v29
	v_dual_fmac_f32 v56, 0x3e9e377a, v43 :: v_dual_sub_f32 v43, v16, v12
	s_delay_alu instid0(VALU_DEP_2) | instskip(NEXT) | instid1(VALU_DEP_3)
	v_dual_add_f32 v41, v64, v55 :: v_dual_add_f32 v2, v58, v66
	v_add_f32_e32 v3, v65, v67
	ds_store_2addr_b64 v240, v[2:3], v[40:41] offset1:9
	v_add_f32_e32 v2, v49, v29
	v_sub_f32_e32 v3, v33, v29
	v_sub_f32_e32 v29, v31, v35
	v_add_f32_e32 v31, v35, v24
	s_delay_alu instid0(VALU_DEP_4) | instskip(SKIP_4) | instid1(VALU_DEP_4)
	v_dual_sub_f32 v24, v27, v24 :: v_dual_fmac_f32 v5, -0.5, v2
	v_dual_sub_f32 v2, v39, v49 :: v_dual_sub_f32 v27, v32, v36
	v_add_f32_e32 v32, v36, v25
	v_sub_f32_e32 v25, v28, v25
	v_fmac_f32_e32 v37, -0.5, v31
	v_dual_add_f32 v2, v2, v3 :: v_dual_add_f32 v3, v29, v24
	s_delay_alu instid0(VALU_DEP_4) | instskip(NEXT) | instid1(VALU_DEP_4)
	v_fmac_f32_e32 v38, -0.5, v32
	v_dual_add_f32 v24, v27, v25 :: v_dual_sub_f32 v25, v34, v48
	v_sub_f32_e32 v27, v30, v26
	v_add_f32_e32 v26, v48, v26
	v_fmamk_f32 v28, v53, 0x3f737871, v37
	v_fmac_f32_e32 v37, 0xbf737871, v53
	v_fmamk_f32 v31, v63, 0xbf737871, v5
	v_add_f32_e32 v25, v25, v27
	v_fmamk_f32 v27, v51, 0xbf737871, v38
	v_fmac_f32_e32 v38, 0x3f737871, v51
	v_fma_f32 v4, -0.5, v26, v4
	v_fmac_f32_e32 v37, 0x3f167918, v52
	v_fmac_f32_e32 v5, 0x3f737871, v63
	v_fmac_f32_e32 v27, 0x3f167918, v50
	v_fmac_f32_e32 v38, 0xbf167918, v50
	v_fmamk_f32 v26, v60, 0x3f737871, v4
	v_fmac_f32_e32 v4, 0xbf737871, v60
	v_fmac_f32_e32 v28, 0xbf167918, v52
	v_fmac_f32_e32 v27, 0x3e9e377a, v24
	v_dual_fmac_f32 v38, 0x3e9e377a, v24 :: v_dual_fmac_f32 v37, 0x3e9e377a, v3
	s_delay_alu instid0(VALU_DEP_4) | instskip(SKIP_1) | instid1(VALU_DEP_3)
	v_fmac_f32_e32 v4, 0x3f167918, v59
	v_dual_fmac_f32 v26, 0xbf167918, v59 :: v_dual_fmac_f32 v5, 0xbf167918, v62
	v_mul_f32_e32 v29, 0xbe9e377a, v38
	v_mul_f32_e32 v30, 0xbf737871, v38
	v_fmac_f32_e32 v31, 0x3f167918, v62
	v_fmac_f32_e32 v28, 0x3e9e377a, v3
	v_mul_f32_e32 v32, 0xbf737871, v27
	v_mul_f32_e32 v27, 0x3e9e377a, v27
	v_fmac_f32_e32 v29, 0x3f737871, v37
	v_fmac_f32_e32 v30, 0xbe9e377a, v37
	;; [unrolled: 1-line block ×3, first 2 shown]
	v_dual_fmac_f32 v26, 0x3e9e377a, v25 :: v_dual_fmac_f32 v5, 0x3e9e377a, v2
	v_dual_fmac_f32 v31, 0x3e9e377a, v2 :: v_dual_fmac_f32 v32, 0x3e9e377a, v28
	v_fmac_f32_e32 v27, 0x3f737871, v28
	v_mul_f32_e32 v28, 0xbf167918, v47
	v_mul_f32_e32 v33, 0xbf4f1bbd, v47
	v_dual_add_f32 v3, v5, v29 :: v_dual_add_f32 v2, v4, v30
	s_delay_alu instid0(VALU_DEP_4) | instskip(NEXT) | instid1(VALU_DEP_4)
	v_dual_add_f32 v24, v26, v32 :: v_dual_add_f32 v25, v31, v27
	v_fmac_f32_e32 v28, 0xbf4f1bbd, v46
	s_delay_alu instid0(VALU_DEP_4)
	v_fmac_f32_e32 v33, 0x3f167918, v46
	v_add_f32_e32 v37, v16, v12
	v_sub_f32_e32 v39, v23, v11
	ds_store_2addr_b64 v240, v[24:25], v[2:3] offset0:18 offset1:27
	v_dual_sub_f32 v2, v58, v66 :: v_dual_sub_f32 v3, v65, v67
	v_dual_add_f32 v24, v57, v28 :: v_dual_add_f32 v25, v56, v33
	v_fma_f32 v37, -0.5, v37, v0
	v_sub_f32_e32 v40, v19, v13
	ds_store_2addr_b64 v240, v[24:25], v[2:3] offset0:36 offset1:45
	v_dual_sub_f32 v2, v61, v54 :: v_dual_sub_f32 v3, v64, v55
	v_dual_sub_f32 v24, v26, v32 :: v_dual_sub_f32 v25, v31, v27
	v_fmamk_f32 v41, v39, 0xbf737871, v37
	v_fmac_f32_e32 v37, 0x3f737871, v39
	v_sub_f32_e32 v31, v14, v9
	v_sub_f32_e32 v32, v18, v8
	ds_store_2addr_b64 v240, v[2:3], v[24:25] offset0:54 offset1:63
	v_dual_sub_f32 v3, v5, v29 :: v_dual_sub_f32 v2, v4, v30
	v_dual_sub_f32 v4, v57, v28 :: v_dual_sub_f32 v5, v56, v33
	;; [unrolled: 1-line block ×3, first 2 shown]
	v_fmac_f32_e32 v41, 0xbf167918, v40
	v_fmac_f32_e32 v37, 0x3f167918, v40
	ds_store_2addr_b64 v240, v[2:3], v[4:5] offset0:72 offset1:81
	v_sub_f32_e32 v2, v22, v16
	v_sub_f32_e32 v3, v6, v12
	s_delay_alu instid0(VALU_DEP_1) | instskip(SKIP_2) | instid1(VALU_DEP_3)
	v_dual_add_f32 v5, v21, v18 :: v_dual_add_f32 v24, v2, v3
	v_sub_f32_e32 v2, v23, v19
	v_sub_f32_e32 v3, v11, v13
	v_add_f32_e32 v5, v5, v15
	s_delay_alu instid0(VALU_DEP_4) | instskip(SKIP_1) | instid1(VALU_DEP_4)
	v_fmac_f32_e32 v41, 0x3e9e377a, v24
	v_fmac_f32_e32 v37, 0x3e9e377a, v24
	v_dual_add_f32 v25, v2, v3 :: v_dual_sub_f32 v2, v17, v14
	v_sub_f32_e32 v3, v7, v9
	s_delay_alu instid0(VALU_DEP_1) | instskip(SKIP_1) | instid1(VALU_DEP_2)
	v_dual_add_f32 v5, v5, v10 :: v_dual_add_f32 v26, v2, v3
	v_dual_sub_f32 v2, v18, v15 :: v_dual_sub_f32 v3, v8, v10
	v_add_f32_e32 v47, v5, v8
	s_delay_alu instid0(VALU_DEP_2) | instskip(SKIP_1) | instid1(VALU_DEP_1)
	v_add_f32_e32 v27, v2, v3
	v_add_f32_e32 v2, v14, v9
	v_fma_f32 v28, -0.5, v2, v20
	s_delay_alu instid0(VALU_DEP_1) | instskip(NEXT) | instid1(VALU_DEP_1)
	v_dual_add_f32 v2, v15, v10 :: v_dual_fmamk_f32 v3, v32, 0xbf737871, v28
	v_fma_f32 v29, -0.5, v2, v21
	v_fmac_f32_e32 v28, 0x3f737871, v32
	s_delay_alu instid0(VALU_DEP_3) | instskip(NEXT) | instid1(VALU_DEP_3)
	v_fmac_f32_e32 v3, 0xbf167918, v33
	v_fmamk_f32 v2, v30, 0x3f737871, v29
	v_fmac_f32_e32 v29, 0xbf737871, v30
	s_delay_alu instid0(VALU_DEP_4) | instskip(NEXT) | instid1(VALU_DEP_4)
	v_fmac_f32_e32 v28, 0x3f167918, v33
	v_fmac_f32_e32 v3, 0x3e9e377a, v26
	s_delay_alu instid0(VALU_DEP_4) | instskip(NEXT) | instid1(VALU_DEP_4)
	v_fmac_f32_e32 v2, 0x3f167918, v31
	v_fmac_f32_e32 v29, 0xbf167918, v31
	s_delay_alu instid0(VALU_DEP_4) | instskip(NEXT) | instid1(VALU_DEP_3)
	v_fmac_f32_e32 v28, 0x3e9e377a, v26
	v_fmac_f32_e32 v2, 0x3e9e377a, v27
	s_delay_alu instid0(VALU_DEP_3) | instskip(NEXT) | instid1(VALU_DEP_2)
	v_dual_fmac_f32 v29, 0x3e9e377a, v27 :: v_dual_add_f32 v4, v20, v17
	v_mul_f32_e32 v34, 0xbf167918, v2
	v_dual_mul_f32 v35, 0x3f4f1bbd, v2 :: v_dual_add_f32 v2, v19, v13
	s_delay_alu instid0(VALU_DEP_3) | instskip(NEXT) | instid1(VALU_DEP_3)
	v_add_f32_e32 v4, v4, v14
	v_fmac_f32_e32 v34, 0x3f4f1bbd, v3
	s_delay_alu instid0(VALU_DEP_3) | instskip(SKIP_3) | instid1(VALU_DEP_3)
	v_fmac_f32_e32 v35, 0x3f167918, v3
	v_add_f32_e32 v3, v1, v23
	v_fma_f32 v36, -0.5, v2, v1
	v_add_f32_e32 v2, v0, v22
	v_dual_add_f32 v4, v4, v9 :: v_dual_add_f32 v3, v3, v19
	s_delay_alu instid0(VALU_DEP_2) | instskip(NEXT) | instid1(VALU_DEP_2)
	v_add_f32_e32 v2, v2, v16
	v_add_f32_e32 v46, v4, v7
	s_delay_alu instid0(VALU_DEP_3) | instskip(NEXT) | instid1(VALU_DEP_1)
	v_dual_add_f32 v4, v41, v34 :: v_dual_add_f32 v3, v3, v13
	v_dual_add_f32 v2, v2, v12 :: v_dual_add_f32 v45, v3, v11
	v_sub_f32_e32 v42, v22, v6
	s_delay_alu instid0(VALU_DEP_2) | instskip(NEXT) | instid1(VALU_DEP_2)
	v_dual_add_f32 v38, v2, v6 :: v_dual_add_f32 v3, v45, v47
	v_fmamk_f32 v44, v42, 0x3f737871, v36
	s_delay_alu instid0(VALU_DEP_2) | instskip(SKIP_1) | instid1(VALU_DEP_3)
	v_add_f32_e32 v2, v38, v46
	v_fmac_f32_e32 v36, 0xbf737871, v42
	v_fmac_f32_e32 v44, 0x3f167918, v43
	s_delay_alu instid0(VALU_DEP_2) | instskip(NEXT) | instid1(VALU_DEP_2)
	v_fmac_f32_e32 v36, 0xbf167918, v43
	v_fmac_f32_e32 v44, 0x3e9e377a, v25
	s_delay_alu instid0(VALU_DEP_1)
	v_dual_fmac_f32 v36, 0x3e9e377a, v25 :: v_dual_add_f32 v5, v44, v35
	ds_store_2addr_b64 v255, v[2:3], v[4:5] offset1:9
	v_add_f32_e32 v2, v23, v11
	v_sub_f32_e32 v3, v13, v11
	v_add_f32_e32 v11, v18, v8
	v_dual_sub_f32 v4, v14, v17 :: v_dual_add_f32 v5, v17, v7
	s_delay_alu instid0(VALU_DEP_4) | instskip(SKIP_1) | instid1(VALU_DEP_3)
	v_dual_fmac_f32 v1, -0.5, v2 :: v_dual_sub_f32 v2, v19, v23
	v_sub_f32_e32 v7, v9, v7
	v_dual_fmac_f32 v21, -0.5, v11 :: v_dual_fmac_f32 v20, -0.5, v5
	s_delay_alu instid0(VALU_DEP_3)
	v_fmamk_f32 v11, v43, 0xbf737871, v1
	v_fmac_f32_e32 v1, 0x3f737871, v43
	v_add_f32_e32 v2, v2, v3
	v_add_f32_e32 v3, v4, v7
	v_sub_f32_e32 v7, v12, v6
	v_sub_f32_e32 v9, v15, v18
	v_fmac_f32_e32 v1, 0xbf167918, v42
	v_dual_sub_f32 v5, v16, v22 :: v_dual_sub_f32 v8, v10, v8
	v_add_f32_e32 v6, v22, v6
	v_fmac_f32_e32 v11, 0x3f167918, v42
	s_delay_alu instid0(VALU_DEP_4) | instskip(NEXT) | instid1(VALU_DEP_4)
	v_fmac_f32_e32 v1, 0x3e9e377a, v2
	v_add_f32_e32 v5, v5, v7
	v_fmamk_f32 v7, v31, 0xbf737871, v21
	v_dual_fmac_f32 v21, 0x3f737871, v31 :: v_dual_add_f32 v4, v9, v8
	v_fmamk_f32 v8, v33, 0x3f737871, v20
	v_fmac_f32_e32 v20, 0xbf737871, v33
	v_fma_f32 v0, -0.5, v6, v0
	s_delay_alu instid0(VALU_DEP_4)
	v_fmac_f32_e32 v21, 0xbf167918, v30
	v_fmac_f32_e32 v7, 0x3f167918, v30
	;; [unrolled: 1-line block ×4, first 2 shown]
	v_fmamk_f32 v6, v40, 0x3f737871, v0
	v_fmac_f32_e32 v21, 0x3e9e377a, v4
	v_fmac_f32_e32 v0, 0xbf737871, v40
	s_delay_alu instid0(VALU_DEP_4) | instskip(NEXT) | instid1(VALU_DEP_4)
	v_dual_fmac_f32 v7, 0x3e9e377a, v4 :: v_dual_fmac_f32 v20, 0x3e9e377a, v3
	v_fmac_f32_e32 v6, 0xbf167918, v39
	s_delay_alu instid0(VALU_DEP_4)
	v_mul_f32_e32 v9, 0xbe9e377a, v21
	v_mul_f32_e32 v10, 0xbf737871, v21
	v_fmac_f32_e32 v0, 0x3f167918, v39
	v_fmac_f32_e32 v8, 0x3e9e377a, v3
	v_mul_f32_e32 v12, 0xbf737871, v7
	v_mul_f32_e32 v7, 0x3e9e377a, v7
	v_fmac_f32_e32 v9, 0x3f737871, v20
	v_fmac_f32_e32 v10, 0xbe9e377a, v20
	;; [unrolled: 1-line block ×3, first 2 shown]
	v_dual_fmac_f32 v6, 0x3e9e377a, v5 :: v_dual_fmac_f32 v11, 0x3e9e377a, v2
	v_fmac_f32_e32 v12, 0x3e9e377a, v8
	v_fmac_f32_e32 v7, 0x3f737871, v8
	v_mul_f32_e32 v8, 0xbf167918, v29
	v_mul_f32_e32 v13, 0xbf4f1bbd, v29
	v_dual_add_f32 v3, v1, v9 :: v_dual_add_f32 v2, v0, v10
	s_delay_alu instid0(VALU_DEP_4) | instskip(NEXT) | instid1(VALU_DEP_4)
	v_dual_add_f32 v4, v6, v12 :: v_dual_add_f32 v5, v11, v7
	v_fmac_f32_e32 v8, 0xbf4f1bbd, v28
	s_delay_alu instid0(VALU_DEP_4)
	v_fmac_f32_e32 v13, 0x3f167918, v28
	v_dual_sub_f32 v1, v1, v9 :: v_dual_sub_f32 v0, v0, v10
	ds_store_2addr_b64 v255, v[4:5], v[2:3] offset0:18 offset1:27
	v_dual_sub_f32 v2, v38, v46 :: v_dual_sub_f32 v3, v45, v47
	v_dual_add_f32 v4, v37, v8 :: v_dual_add_f32 v5, v36, v13
	ds_store_2addr_b64 v255, v[4:5], v[2:3] offset0:36 offset1:45
	v_dual_sub_f32 v2, v41, v34 :: v_dual_sub_f32 v3, v44, v35
	v_dual_sub_f32 v4, v6, v12 :: v_dual_sub_f32 v5, v11, v7
	ds_store_2addr_b64 v255, v[2:3], v[4:5] offset0:54 offset1:63
	v_dual_sub_f32 v2, v37, v8 :: v_dual_sub_f32 v3, v36, v13
	ds_store_2addr_b64 v255, v[0:1], v[2:3] offset0:72 offset1:81
	s_waitcnt lgkmcnt(0)
	s_barrier
	buffer_gl0_inv
	scratch_load_b64 v[4:5], off, off offset:500 ; 8-byte Folded Reload
	ds_load_2addr_b64 v[0:3], v81 offset0:120 offset1:228
	s_waitcnt vmcnt(0) lgkmcnt(0)
	v_mul_f32_e32 v22, v5, v1
	s_delay_alu instid0(VALU_DEP_1) | instskip(SKIP_1) | instid1(VALU_DEP_1)
	v_fmac_f32_e32 v22, v4, v0
	v_mul_f32_e32 v0, v5, v0
	v_fma_f32 v23, v4, v1, -v0
	scratch_load_b64 v[4:5], off, off offset:476 ; 8-byte Folded Reload
	s_waitcnt vmcnt(0)
	v_mul_f32_e32 v18, v5, v3
	v_mul_f32_e32 v0, v5, v2
	s_delay_alu instid0(VALU_DEP_2) | instskip(NEXT) | instid1(VALU_DEP_2)
	v_fmac_f32_e32 v18, v4, v2
	v_fma_f32 v19, v4, v3, -v0
	scratch_load_b64 v[4:5], off, off offset:508 ; 8-byte Folded Reload
	ds_load_2addr_b64 v[0:3], v68 offset0:80 offset1:188
	s_waitcnt vmcnt(0) lgkmcnt(0)
	v_mul_f32_e32 v12, v5, v1
	s_delay_alu instid0(VALU_DEP_1) | instskip(SKIP_1) | instid1(VALU_DEP_1)
	v_fmac_f32_e32 v12, v4, v0
	v_mul_f32_e32 v0, v5, v0
	v_fma_f32 v15, v4, v1, -v0
	scratch_load_b64 v[4:5], off, off offset:484 ; 8-byte Folded Reload
	s_waitcnt vmcnt(0)
	v_mul_f32_e32 v8, v5, v3
	v_mul_f32_e32 v0, v5, v2
	s_delay_alu instid0(VALU_DEP_2) | instskip(NEXT) | instid1(VALU_DEP_2)
	v_fmac_f32_e32 v8, v4, v2
	v_fma_f32 v9, v4, v3, -v0
	scratch_load_b64 v[4:5], off, off offset:460 ; 8-byte Folded Reload
	ds_load_2addr_b64 v[0:3], v83 offset0:32 offset1:140
	s_waitcnt lgkmcnt(0)
	v_mul_f32_e32 v13, v163, v1
	s_delay_alu instid0(VALU_DEP_1) | instskip(SKIP_1) | instid1(VALU_DEP_1)
	v_fmac_f32_e32 v13, v162, v0
	v_mul_f32_e32 v0, v163, v0
	v_fma_f32 v14, v162, v1, -v0
	s_waitcnt vmcnt(0)
	v_mul_f32_e32 v44, v5, v3
	s_delay_alu instid0(VALU_DEP_1) | instskip(SKIP_1) | instid1(VALU_DEP_1)
	v_fmac_f32_e32 v44, v4, v2
	v_mul_f32_e32 v2, v5, v2
	v_fma_f32 v45, v4, v3, -v2
	ds_load_2addr_b64 v[0:3], v80 offset0:24 offset1:132
	ds_load_2addr_b64 v[4:7], v178 offset1:108
	s_waitcnt lgkmcnt(1)
	v_mul_f32_e32 v10, v161, v3
	v_mul_f32_e32 v24, v153, v1
	s_delay_alu instid0(VALU_DEP_2) | instskip(SKIP_1) | instid1(VALU_DEP_3)
	v_fmac_f32_e32 v10, v160, v2
	v_mul_f32_e32 v2, v161, v2
	v_fmac_f32_e32 v24, v152, v0
	v_mul_f32_e32 v0, v153, v0
	s_delay_alu instid0(VALU_DEP_3) | instskip(NEXT) | instid1(VALU_DEP_2)
	v_fma_f32 v11, v160, v3, -v2
	v_fma_f32 v25, v152, v1, -v0
	ds_load_2addr_b64 v[0:3], v177 offset0:72 offset1:180
	s_waitcnt lgkmcnt(0)
	v_mul_f32_e32 v26, v155, v3
	s_delay_alu instid0(VALU_DEP_1) | instskip(NEXT) | instid1(VALU_DEP_1)
	v_dual_mul_f32 v35, v123, v1 :: v_dual_fmac_f32 v26, v154, v2
	v_dual_mul_f32 v2, v155, v2 :: v_dual_fmac_f32 v35, v122, v0
	v_mul_f32_e32 v0, v123, v0
	s_delay_alu instid0(VALU_DEP_2) | instskip(NEXT) | instid1(VALU_DEP_2)
	v_fma_f32 v28, v154, v3, -v2
	v_fma_f32 v34, v122, v1, -v0
	ds_load_2addr_b64 v[0:3], v71 offset0:64 offset1:172
	s_waitcnt lgkmcnt(0)
	v_mul_f32_e32 v32, v121, v3
	v_mul_f32_e32 v40, v105, v1
	s_delay_alu instid0(VALU_DEP_2) | instskip(SKIP_1) | instid1(VALU_DEP_3)
	v_fmac_f32_e32 v32, v120, v2
	v_mul_f32_e32 v2, v121, v2
	v_fmac_f32_e32 v40, v104, v0
	v_mul_f32_e32 v0, v105, v0
	s_delay_alu instid0(VALU_DEP_3) | instskip(NEXT) | instid1(VALU_DEP_2)
	v_fma_f32 v33, v120, v3, -v2
	v_fma_f32 v41, v104, v1, -v0
	ds_load_2addr_b64 v[0:3], v176 offset0:112 offset1:220
	s_waitcnt lgkmcnt(0)
	v_mul_f32_e32 v42, v107, v3
	v_mul_f32_e32 v46, v250, v1
	s_delay_alu instid0(VALU_DEP_2) | instskip(SKIP_1) | instid1(VALU_DEP_3)
	v_fmac_f32_e32 v42, v106, v2
	v_mul_f32_e32 v2, v107, v2
	v_fmac_f32_e32 v46, v249, v0
	v_mul_f32_e32 v0, v250, v0
	s_delay_alu instid0(VALU_DEP_3) | instskip(NEXT) | instid1(VALU_DEP_2)
	;; [unrolled: 12-line block ×3, first 2 shown]
	v_fma_f32 v51, v247, v3, -v2
	v_fma_f32 v21, v138, v1, -v0
	ds_load_2addr_b64 v[0:3], v224 offset0:96 offset1:204
	s_waitcnt lgkmcnt(0)
	v_mul_f32_e32 v16, v137, v3
	s_delay_alu instid0(VALU_DEP_1) | instskip(NEXT) | instid1(VALU_DEP_1)
	v_dual_mul_f32 v27, v113, v1 :: v_dual_fmac_f32 v16, v136, v2
	v_dual_mul_f32 v2, v137, v2 :: v_dual_fmac_f32 v27, v112, v0
	v_mul_f32_e32 v0, v113, v0
	s_delay_alu instid0(VALU_DEP_2) | instskip(NEXT) | instid1(VALU_DEP_2)
	v_fma_f32 v17, v136, v3, -v2
	v_fma_f32 v29, v112, v1, -v0
	ds_load_2addr_b64 v[0:3], v171 offset0:16 offset1:124
	s_waitcnt lgkmcnt(0)
	v_mul_f32_e32 v30, v115, v3
	v_mul_f32_e32 v38, v103, v1
	s_delay_alu instid0(VALU_DEP_2) | instskip(SKIP_1) | instid1(VALU_DEP_3)
	v_fmac_f32_e32 v30, v114, v2
	v_mul_f32_e32 v2, v115, v2
	v_fmac_f32_e32 v38, v102, v0
	v_mul_f32_e32 v0, v103, v0
	s_delay_alu instid0(VALU_DEP_3) | instskip(NEXT) | instid1(VALU_DEP_2)
	v_fma_f32 v31, v114, v3, -v2
	v_fma_f32 v39, v102, v1, -v0
	ds_load_2addr_b64 v[0:3], v225 offset0:136 offset1:244
	s_waitcnt lgkmcnt(0)
	v_dual_mul_f32 v36, v101, v3 :: v_dual_mul_f32 v43, v184, v1
	s_delay_alu instid0(VALU_DEP_1) | instskip(NEXT) | instid1(VALU_DEP_2)
	v_fmac_f32_e32 v36, v100, v2
	v_dual_mul_f32 v2, v101, v2 :: v_dual_fmac_f32 v43, v183, v0
	v_mul_f32_e32 v0, v184, v0
	s_delay_alu instid0(VALU_DEP_2) | instskip(NEXT) | instid1(VALU_DEP_2)
	v_fma_f32 v37, v100, v3, -v2
	v_fma_f32 v49, v183, v1, -v0
	ds_load_2addr_b64 v[0:3], v226 offset0:56 offset1:164
	s_waitcnt lgkmcnt(0)
	v_mul_f32_e32 v52, v186, v3
	v_mul_f32_e32 v54, v244, v1
	s_delay_alu instid0(VALU_DEP_2) | instskip(SKIP_1) | instid1(VALU_DEP_3)
	v_fmac_f32_e32 v52, v185, v2
	v_mul_f32_e32 v2, v186, v2
	v_fmac_f32_e32 v54, v243, v0
	v_mul_f32_e32 v0, v244, v0
	s_delay_alu instid0(VALU_DEP_3) | instskip(NEXT) | instid1(VALU_DEP_2)
	v_fma_f32 v53, v185, v3, -v2
	v_fma_f32 v55, v243, v1, -v0
	ds_load_2addr_b64 v[0:3], v82 offset0:48 offset1:156
	s_waitcnt lgkmcnt(0)
	v_mul_f32_e32 v56, v242, v3
	s_delay_alu instid0(VALU_DEP_1) | instskip(SKIP_1) | instid1(VALU_DEP_2)
	v_fmac_f32_e32 v56, v241, v2
	v_mul_f32_e32 v2, v242, v2
	v_add_f32_e32 v60, v56, v50
	s_delay_alu instid0(VALU_DEP_2) | instskip(SKIP_1) | instid1(VALU_DEP_1)
	v_fma_f32 v57, v241, v3, -v2
	v_dual_add_f32 v3, v5, v55 :: v_dual_add_f32 v2, v4, v54
	v_dual_add_f32 v60, v60, v44 :: v_dual_add_f32 v59, v3, v47
	s_delay_alu instid0(VALU_DEP_2)
	v_dual_add_f32 v3, v51, v45 :: v_dual_add_f32 v58, v2, v46
	v_add_f32_e32 v2, v54, v46
	v_sub_f32_e32 v54, v54, v46
	v_add_f32_e32 v46, v55, v47
	v_sub_f32_e32 v55, v55, v47
	v_add_f32_e32 v47, v57, v51
	v_fmac_f32_e32 v57, -0.5, v3
	v_add_f32_e32 v3, v50, v44
	v_dual_sub_f32 v50, v50, v44 :: v_dual_sub_f32 v51, v51, v45
	v_fma_f32 v64, -0.5, v2, v4
	v_fma_f32 v65, -0.5, v46, v5
	s_delay_alu instid0(VALU_DEP_3) | instskip(SKIP_2) | instid1(VALU_DEP_4)
	v_dual_fmac_f32 v56, -0.5, v3 :: v_dual_fmamk_f32 v3, v50, 0x3f5db3d7, v57
	v_fmac_f32_e32 v57, 0xbf5db3d7, v50
	v_add_f32_e32 v61, v47, v45
	v_fmamk_f32 v67, v54, 0x3f5db3d7, v65
	s_delay_alu instid0(VALU_DEP_4)
	v_dual_fmac_f32 v65, 0xbf5db3d7, v54 :: v_dual_mul_f32 v62, 0xbf5db3d7, v3
	v_mul_f32_e32 v63, 0.5, v3
	v_fmamk_f32 v3, v51, 0xbf5db3d7, v56
	v_fmamk_f32 v66, v55, 0xbf5db3d7, v64
	v_fmac_f32_e32 v56, 0x3f5db3d7, v51
	v_mul_f32_e32 v50, 0xbf5db3d7, v57
	s_delay_alu instid0(VALU_DEP_4)
	v_dual_mul_f32 v51, -0.5, v57 :: v_dual_fmac_f32 v62, 0.5, v3
	v_fmac_f32_e32 v63, 0x3f5db3d7, v3
	ds_load_2addr_b64 v[2:5], v130 offset0:88 offset1:196
	s_waitcnt lgkmcnt(0)
	s_barrier
	buffer_gl0_inv
	s_clause 0x1
	scratch_load_b32 v69, off, off offset:420
	scratch_load_b32 v54, off, off offset:380
	v_dual_add_f32 v44, v58, v60 :: v_dual_add_f32 v45, v59, v61
	v_dual_add_f32 v46, v66, v62 :: v_dual_add_f32 v47, v67, v63
	v_fmac_f32_e32 v64, 0x3f5db3d7, v55
	v_fmac_f32_e32 v50, -0.5, v56
	v_fmac_f32_e32 v51, 0x3f5db3d7, v56
	scratch_load_b32 v56, off, off offset:424 ; 4-byte Folded Reload
	s_waitcnt vmcnt(2)
	ds_store_2addr_b64 v69, v[44:45], v[46:47] offset1:90
	v_dual_sub_f32 v44, v58, v60 :: v_dual_sub_f32 v45, v59, v61
	v_dual_add_f32 v46, v64, v50 :: v_dual_add_f32 v47, v65, v51
	s_waitcnt vmcnt(1)
	ds_store_2addr_b64 v54, v[46:47], v[44:45] offset0:52 offset1:142
	v_sub_f32_e32 v46, v64, v50
	scratch_load_b32 v50, off, off offset:392 ; 4-byte Folded Reload
	v_dual_sub_f32 v44, v66, v62 :: v_dual_sub_f32 v45, v67, v63
	v_sub_f32_e32 v47, v65, v51
	v_add_f32_e32 v51, v43, v40
	s_delay_alu instid0(VALU_DEP_1)
	v_add_f32_e32 v51, v51, v22
	s_waitcnt vmcnt(0)
	ds_store_2addr_b64 v50, v[44:45], v[46:47] offset0:104 offset1:194
	v_dual_add_f32 v45, v7, v53 :: v_dual_add_f32 v44, v53, v48
	v_sub_f32_e32 v47, v53, v48
	v_add_f32_e32 v50, v49, v41
	s_delay_alu instid0(VALU_DEP_3) | instskip(NEXT) | instid1(VALU_DEP_4)
	v_dual_add_f32 v46, v52, v42 :: v_dual_add_f32 v45, v45, v48
	v_dual_add_f32 v48, v41, v23 :: v_dual_fmac_f32 v7, -0.5, v44
	v_add_f32_e32 v44, v6, v52
	s_delay_alu instid0(VALU_DEP_3) | instskip(NEXT) | instid1(VALU_DEP_3)
	v_fma_f32 v6, -0.5, v46, v6
	v_dual_add_f32 v50, v50, v23 :: v_dual_fmac_f32 v49, -0.5, v48
	v_add_f32_e32 v48, v40, v22
	s_delay_alu instid0(VALU_DEP_4) | instskip(SKIP_2) | instid1(VALU_DEP_4)
	v_add_f32_e32 v44, v44, v42
	v_sub_f32_e32 v42, v52, v42
	v_sub_f32_e32 v52, v41, v23
	v_dual_fmamk_f32 v46, v47, 0xbf5db3d7, v6 :: v_dual_fmac_f32 v43, -0.5, v48
	s_delay_alu instid0(VALU_DEP_3) | instskip(SKIP_3) | instid1(VALU_DEP_4)
	v_dual_sub_f32 v48, v40, v22 :: v_dual_fmamk_f32 v55, v42, 0x3f5db3d7, v7
	v_add_f32_e32 v23, v45, v50
	v_fmac_f32_e32 v7, 0xbf5db3d7, v42
	v_fmac_f32_e32 v6, 0x3f5db3d7, v47
	v_fmamk_f32 v22, v48, 0x3f5db3d7, v49
	v_fmac_f32_e32 v49, 0xbf5db3d7, v48
	s_delay_alu instid0(VALU_DEP_2) | instskip(SKIP_3) | instid1(VALU_DEP_2)
	v_mul_f32_e32 v53, 0xbf5db3d7, v22
	v_mul_f32_e32 v54, 0.5, v22
	v_fmamk_f32 v22, v52, 0xbf5db3d7, v43
	v_fmac_f32_e32 v43, 0x3f5db3d7, v52
	v_dual_mul_f32 v42, 0xbf5db3d7, v49 :: v_dual_fmac_f32 v53, 0.5, v22
	s_delay_alu instid0(VALU_DEP_4) | instskip(SKIP_1) | instid1(VALU_DEP_3)
	v_fmac_f32_e32 v54, 0x3f5db3d7, v22
	v_add_f32_e32 v22, v44, v51
	v_fmac_f32_e32 v42, -0.5, v43
	s_delay_alu instid0(VALU_DEP_3)
	v_dual_add_f32 v40, v46, v53 :: v_dual_add_f32 v41, v55, v54
	ds_store_2addr_b64 v56, v[22:23], v[40:41] offset1:90
	v_sub_f32_e32 v22, v44, v51
	v_dual_mul_f32 v44, -0.5, v49 :: v_dual_sub_f32 v23, v45, v50
	v_add_f32_e32 v40, v6, v42
	v_sub_f32_e32 v6, v6, v42
	s_delay_alu instid0(VALU_DEP_3)
	v_fmac_f32_e32 v44, 0x3f5db3d7, v43
	scratch_load_b32 v43, off, off offset:384 ; 4-byte Folded Reload
	v_add_f32_e32 v41, v7, v44
	v_sub_f32_e32 v7, v7, v44
	scratch_load_b32 v44, off, off offset:428 ; 4-byte Folded Reload
	s_waitcnt vmcnt(1)
	ds_store_2addr_b64 v43, v[40:41], v[22:23] offset0:52 offset1:142
	scratch_load_b32 v40, off, off offset:388 ; 4-byte Folded Reload
	v_dual_sub_f32 v22, v46, v53 :: v_dual_sub_f32 v23, v55, v54
	s_waitcnt vmcnt(0)
	ds_store_2addr_b64 v40, v[22:23], v[6:7] offset0:104 offset1:194
	v_dual_add_f32 v6, v2, v38 :: v_dual_add_f32 v7, v3, v39
	v_dual_sub_f32 v23, v38, v35 :: v_dual_add_f32 v40, v36, v32
	s_delay_alu instid0(VALU_DEP_2)
	v_add_f32_e32 v22, v6, v35
	v_dual_add_f32 v6, v38, v35 :: v_dual_add_f32 v35, v39, v34
	v_sub_f32_e32 v38, v39, v34
	v_dual_add_f32 v34, v7, v34 :: v_dual_add_f32 v7, v33, v19
	v_add_f32_e32 v39, v37, v33
	v_sub_f32_e32 v33, v33, v19
	v_fma_f32 v41, -0.5, v6, v2
	v_fma_f32 v35, -0.5, v35, v3
	v_fmac_f32_e32 v37, -0.5, v7
	v_add_f32_e32 v7, v32, v18
	v_sub_f32_e32 v32, v32, v18
	v_dual_add_f32 v18, v40, v18 :: v_dual_add_f32 v19, v39, v19
	v_fmamk_f32 v42, v38, 0xbf5db3d7, v41
	s_delay_alu instid0(VALU_DEP_3) | instskip(NEXT) | instid1(VALU_DEP_3)
	v_dual_fmac_f32 v36, -0.5, v7 :: v_dual_fmamk_f32 v7, v32, 0x3f5db3d7, v37
	v_dual_fmamk_f32 v43, v23, 0x3f5db3d7, v35 :: v_dual_add_f32 v2, v22, v18
	s_delay_alu instid0(VALU_DEP_4) | instskip(SKIP_1) | instid1(VALU_DEP_4)
	v_add_f32_e32 v3, v34, v19
	v_fmac_f32_e32 v37, 0xbf5db3d7, v32
	v_mul_f32_e32 v39, 0xbf5db3d7, v7
	v_dual_mul_f32 v40, 0.5, v7 :: v_dual_fmamk_f32 v7, v33, 0xbf5db3d7, v36
	v_dual_fmac_f32 v36, 0x3f5db3d7, v33 :: v_dual_fmac_f32 v41, 0x3f5db3d7, v38
	v_fmac_f32_e32 v35, 0xbf5db3d7, v23
	scratch_load_b32 v32, off, off offset:432 ; 4-byte Folded Reload
	v_fmac_f32_e32 v39, 0.5, v7
	v_fmac_f32_e32 v40, 0x3f5db3d7, v7
	s_delay_alu instid0(VALU_DEP_1) | instskip(SKIP_4) | instid1(VALU_DEP_1)
	v_dual_add_f32 v6, v42, v39 :: v_dual_add_f32 v7, v43, v40
	ds_store_2addr_b64 v44, v[2:3], v[6:7] offset1:90
	v_sub_f32_e32 v2, v22, v18
	scratch_load_b32 v22, off, off offset:396 ; 4-byte Folded Reload
	v_dual_sub_f32 v3, v34, v19 :: v_dual_mul_f32 v18, 0xbf5db3d7, v37
	v_dual_mul_f32 v19, -0.5, v37 :: v_dual_fmac_f32 v18, -0.5, v36
	s_delay_alu instid0(VALU_DEP_1) | instskip(NEXT) | instid1(VALU_DEP_1)
	v_dual_fmac_f32 v19, 0x3f5db3d7, v36 :: v_dual_add_f32 v6, v41, v18
	v_add_f32_e32 v7, v35, v19
	s_waitcnt vmcnt(0)
	ds_store_2addr_b64 v22, v[6:7], v[2:3] offset0:52 offset1:142
	v_sub_f32_e32 v6, v41, v18
	scratch_load_b32 v18, off, off offset:400 ; 4-byte Folded Reload
	v_dual_sub_f32 v2, v42, v39 :: v_dual_sub_f32 v3, v43, v40
	v_sub_f32_e32 v7, v35, v19
	v_dual_sub_f32 v19, v30, v26 :: v_dual_sub_f32 v22, v31, v28
	s_waitcnt vmcnt(0)
	ds_store_2addr_b64 v18, v[2:3], v[6:7] offset0:104 offset1:194
	v_dual_add_f32 v3, v5, v31 :: v_dual_add_f32 v2, v31, v28
	v_dual_add_f32 v6, v29, v25 :: v_dual_add_f32 v7, v27, v24
	s_delay_alu instid0(VALU_DEP_2) | instskip(SKIP_1) | instid1(VALU_DEP_4)
	v_add_f32_e32 v23, v3, v28
	v_add_f32_e32 v3, v25, v15
	v_fmac_f32_e32 v5, -0.5, v2
	v_dual_add_f32 v2, v4, v30 :: v_dual_sub_f32 v25, v25, v15
	v_add_f32_e32 v15, v6, v15
	s_delay_alu instid0(VALU_DEP_4) | instskip(SKIP_4) | instid1(VALU_DEP_4)
	v_fmac_f32_e32 v29, -0.5, v3
	v_add_f32_e32 v3, v24, v12
	v_sub_f32_e32 v24, v24, v12
	v_add_f32_e32 v18, v2, v26
	v_add_f32_e32 v2, v30, v26
	v_dual_add_f32 v12, v7, v12 :: v_dual_fmac_f32 v27, -0.5, v3
	s_delay_alu instid0(VALU_DEP_4) | instskip(SKIP_1) | instid1(VALU_DEP_4)
	v_fmamk_f32 v3, v24, 0x3f5db3d7, v29
	v_fmamk_f32 v31, v19, 0x3f5db3d7, v5
	v_fma_f32 v4, -0.5, v2, v4
	s_delay_alu instid0(VALU_DEP_4) | instskip(NEXT) | instid1(VALU_DEP_4)
	v_add_f32_e32 v2, v18, v12
	v_dual_fmac_f32 v29, 0xbf5db3d7, v24 :: v_dual_mul_f32 v26, 0xbf5db3d7, v3
	v_dual_mul_f32 v28, 0.5, v3 :: v_dual_fmamk_f32 v3, v25, 0xbf5db3d7, v27
	s_delay_alu instid0(VALU_DEP_4) | instskip(SKIP_2) | instid1(VALU_DEP_4)
	v_fmamk_f32 v30, v22, 0xbf5db3d7, v4
	v_dual_fmac_f32 v27, 0x3f5db3d7, v25 :: v_dual_fmac_f32 v4, 0x3f5db3d7, v22
	v_fmac_f32_e32 v5, 0xbf5db3d7, v19
	v_fmac_f32_e32 v26, 0.5, v3
	v_fmac_f32_e32 v28, 0x3f5db3d7, v3
	s_delay_alu instid0(VALU_DEP_2) | instskip(NEXT) | instid1(VALU_DEP_2)
	v_dual_add_f32 v3, v23, v15 :: v_dual_add_f32 v6, v30, v26
	v_add_f32_e32 v7, v31, v28
	ds_store_2addr_b64 v32, v[2:3], v[6:7] offset1:90
	v_sub_f32_e32 v2, v18, v12
	scratch_load_b32 v18, off, off offset:404 ; 4-byte Folded Reload
	v_dual_sub_f32 v3, v23, v15 :: v_dual_mul_f32 v12, 0xbf5db3d7, v29
	s_delay_alu instid0(VALU_DEP_1) | instskip(NEXT) | instid1(VALU_DEP_1)
	v_dual_mul_f32 v15, -0.5, v29 :: v_dual_fmac_f32 v12, -0.5, v27
	v_dual_fmac_f32 v15, 0x3f5db3d7, v27 :: v_dual_add_f32 v6, v4, v12
	s_delay_alu instid0(VALU_DEP_1)
	v_add_f32_e32 v7, v5, v15
	s_waitcnt vmcnt(0)
	ds_store_2addr_b64 v18, v[6:7], v[2:3] offset0:52 offset1:142
	scratch_load_b32 v6, off, off offset:408 ; 4-byte Folded Reload
	v_dual_sub_f32 v3, v5, v15 :: v_dual_sub_f32 v2, v4, v12
	v_dual_sub_f32 v4, v30, v26 :: v_dual_sub_f32 v5, v31, v28
	;; [unrolled: 1-line block ×3, first 2 shown]
	s_waitcnt vmcnt(0)
	ds_store_2addr_b64 v6, v[4:5], v[2:3] offset0:104 offset1:194
	v_add_f32_e32 v2, v21, v14
	v_add_f32_e32 v3, v1, v21
	v_dual_add_f32 v4, v17, v11 :: v_dual_add_f32 v5, v16, v10
	s_delay_alu instid0(VALU_DEP_3) | instskip(NEXT) | instid1(VALU_DEP_1)
	v_dual_fmac_f32 v1, -0.5, v2 :: v_dual_add_f32 v2, v0, v20
	v_dual_fmamk_f32 v19, v7, 0x3f5db3d7, v1 :: v_dual_add_f32 v6, v2, v13
	v_add_f32_e32 v2, v20, v13
	scratch_load_b32 v20, off, off offset:436 ; 4-byte Folded Reload
	v_add_f32_e32 v13, v3, v14
	v_add_f32_e32 v3, v11, v9
	v_sub_f32_e32 v11, v11, v9
	v_fma_f32 v0, -0.5, v2, v0
	v_add_f32_e32 v9, v4, v9
	v_fmac_f32_e32 v1, 0xbf5db3d7, v7
	v_fmac_f32_e32 v17, -0.5, v3
	v_add_f32_e32 v3, v10, v8
	v_sub_f32_e32 v10, v10, v8
	v_add_f32_e32 v8, v5, v8
	v_fmamk_f32 v18, v12, 0xbf5db3d7, v0
	v_fmac_f32_e32 v0, 0x3f5db3d7, v12
	s_delay_alu instid0(VALU_DEP_4) | instskip(NEXT) | instid1(VALU_DEP_4)
	v_dual_fmac_f32 v16, -0.5, v3 :: v_dual_fmamk_f32 v3, v10, 0x3f5db3d7, v17
	v_dual_add_f32 v2, v6, v8 :: v_dual_fmac_f32 v17, 0xbf5db3d7, v10
	s_delay_alu instid0(VALU_DEP_2) | instskip(SKIP_1) | instid1(VALU_DEP_4)
	v_mul_f32_e32 v14, 0xbf5db3d7, v3
	v_mul_f32_e32 v15, 0.5, v3
	v_fmamk_f32 v3, v11, 0xbf5db3d7, v16
	s_delay_alu instid0(VALU_DEP_4) | instskip(NEXT) | instid1(VALU_DEP_2)
	v_dual_fmac_f32 v16, 0x3f5db3d7, v11 :: v_dual_mul_f32 v7, -0.5, v17
	v_fmac_f32_e32 v14, 0.5, v3
	s_delay_alu instid0(VALU_DEP_4) | instskip(SKIP_1) | instid1(VALU_DEP_3)
	v_fmac_f32_e32 v15, 0x3f5db3d7, v3
	v_add_f32_e32 v3, v13, v9
	v_dual_fmac_f32 v7, 0x3f5db3d7, v16 :: v_dual_add_f32 v4, v18, v14
	s_delay_alu instid0(VALU_DEP_3)
	v_add_f32_e32 v5, v19, v15
	s_waitcnt vmcnt(0)
	ds_store_2addr_b64 v20, v[2:3], v[4:5] offset1:90
	v_sub_f32_e32 v2, v6, v8
	scratch_load_b32 v8, off, off offset:412 ; 4-byte Folded Reload
	v_mul_f32_e32 v6, 0xbf5db3d7, v17
	v_sub_f32_e32 v3, v13, v9
	v_add_f32_e32 v5, v1, v7
	s_delay_alu instid0(VALU_DEP_3) | instskip(NEXT) | instid1(VALU_DEP_1)
	v_dual_sub_f32 v1, v1, v7 :: v_dual_fmac_f32 v6, -0.5, v16
	v_add_f32_e32 v4, v0, v6
	v_sub_f32_e32 v0, v0, v6
	s_waitcnt vmcnt(0)
	ds_store_2addr_b64 v8, v[4:5], v[2:3] offset0:52 offset1:142
	scratch_load_b32 v4, off, off offset:416 ; 4-byte Folded Reload
	v_dual_sub_f32 v2, v18, v14 :: v_dual_sub_f32 v3, v19, v15
	s_waitcnt vmcnt(0)
	ds_store_2addr_b64 v4, v[2:3], v[0:1] offset0:104 offset1:194
	s_waitcnt lgkmcnt(0)
	s_barrier
	buffer_gl0_inv
	scratch_load_b64 v[4:5], off, off offset:516 ; 8-byte Folded Reload
	ds_load_2addr_b64 v[0:3], v81 offset0:120 offset1:228
	s_waitcnt vmcnt(0) lgkmcnt(0)
	v_mul_f32_e32 v20, v5, v1
	s_delay_alu instid0(VALU_DEP_1) | instskip(SKIP_1) | instid1(VALU_DEP_1)
	v_fmac_f32_e32 v20, v4, v0
	v_mul_f32_e32 v0, v5, v0
	v_fma_f32 v21, v4, v1, -v0
	scratch_load_b64 v[4:5], off, off offset:524 ; 8-byte Folded Reload
	s_waitcnt vmcnt(0)
	v_mul_f32_e32 v16, v5, v3
	v_mul_f32_e32 v0, v5, v2
	s_delay_alu instid0(VALU_DEP_2) | instskip(NEXT) | instid1(VALU_DEP_2)
	v_fmac_f32_e32 v16, v4, v2
	v_fma_f32 v18, v4, v3, -v0
	scratch_load_b64 v[4:5], off, off offset:532 ; 8-byte Folded Reload
	ds_load_2addr_b64 v[0:3], v68 offset0:80 offset1:188
	s_waitcnt lgkmcnt(0)
	v_mul_f32_e32 v6, v246, v3
	s_delay_alu instid0(VALU_DEP_1) | instskip(SKIP_2) | instid1(VALU_DEP_1)
	v_fmac_f32_e32 v6, v245, v2
	s_waitcnt vmcnt(0)
	v_mul_f32_e32 v14, v5, v1
	v_fmac_f32_e32 v14, v4, v0
	v_mul_f32_e32 v0, v5, v0
	s_delay_alu instid0(VALU_DEP_1) | instskip(SKIP_2) | instid1(VALU_DEP_1)
	v_fma_f32 v15, v4, v1, -v0
	scratch_load_b64 v[4:5], off, off offset:492 ; 8-byte Folded Reload
	v_mul_f32_e32 v0, v246, v2
	v_fma_f32 v7, v245, v3, -v0
	ds_load_2addr_b64 v[0:3], v83 offset0:32 offset1:140
	s_waitcnt lgkmcnt(0)
	v_mul_f32_e32 v8, v167, v1
	s_delay_alu instid0(VALU_DEP_1) | instskip(SKIP_1) | instid1(VALU_DEP_1)
	v_fmac_f32_e32 v8, v166, v0
	v_mul_f32_e32 v0, v167, v0
	v_fma_f32 v11, v166, v1, -v0
	s_waitcnt vmcnt(0)
	v_mul_f32_e32 v45, v5, v3
	s_delay_alu instid0(VALU_DEP_1) | instskip(SKIP_1) | instid1(VALU_DEP_1)
	v_fmac_f32_e32 v45, v4, v2
	v_mul_f32_e32 v2, v5, v2
	v_fma_f32 v46, v4, v3, -v2
	ds_load_2addr_b64 v[0:3], v80 offset0:24 offset1:132
	s_waitcnt lgkmcnt(0)
	v_mul_f32_e32 v10, v165, v3
	s_delay_alu instid0(VALU_DEP_1) | instskip(NEXT) | instid1(VALU_DEP_1)
	v_dual_mul_f32 v23, v145, v1 :: v_dual_fmac_f32 v10, v164, v2
	v_dual_mul_f32 v2, v165, v2 :: v_dual_fmac_f32 v23, v144, v0
	v_mul_f32_e32 v0, v145, v0
	s_delay_alu instid0(VALU_DEP_2) | instskip(NEXT) | instid1(VALU_DEP_2)
	v_fma_f32 v9, v164, v3, -v2
	v_fma_f32 v22, v144, v1, -v0
	ds_load_2addr_b64 v[0:3], v177 offset0:72 offset1:180
	s_waitcnt lgkmcnt(0)
	v_mul_f32_e32 v24, v147, v3
	v_mul_f32_e32 v30, v151, v1
	s_delay_alu instid0(VALU_DEP_2) | instskip(SKIP_1) | instid1(VALU_DEP_3)
	v_fmac_f32_e32 v24, v146, v2
	v_mul_f32_e32 v2, v147, v2
	v_fmac_f32_e32 v30, v150, v0
	v_mul_f32_e32 v0, v151, v0
	s_delay_alu instid0(VALU_DEP_3) | instskip(NEXT) | instid1(VALU_DEP_2)
	v_fma_f32 v25, v146, v3, -v2
	v_fma_f32 v31, v150, v1, -v0
	ds_load_2addr_b64 v[0:3], v71 offset0:64 offset1:172
	s_waitcnt lgkmcnt(0)
	v_mul_f32_e32 v33, v149, v3
	v_mul_f32_e32 v39, v221, v1
	s_delay_alu instid0(VALU_DEP_2) | instskip(NEXT) | instid1(VALU_DEP_2)
	v_fmac_f32_e32 v33, v148, v2
	v_dual_mul_f32 v2, v149, v2 :: v_dual_fmac_f32 v39, v220, v0
	v_mul_f32_e32 v0, v221, v0
	s_delay_alu instid0(VALU_DEP_2) | instskip(NEXT) | instid1(VALU_DEP_2)
	v_fma_f32 v35, v148, v3, -v2
	v_fma_f32 v38, v220, v1, -v0
	ds_load_2addr_b64 v[0:3], v176 offset0:112 offset1:220
	s_waitcnt lgkmcnt(0)
	v_mul_f32_e32 v40, v223, v3
	s_delay_alu instid0(VALU_DEP_1) | instskip(NEXT) | instid1(VALU_DEP_1)
	v_dual_mul_f32 v47, v127, v1 :: v_dual_fmac_f32 v40, v222, v2
	v_dual_mul_f32 v2, v223, v2 :: v_dual_fmac_f32 v47, v126, v0
	v_mul_f32_e32 v0, v127, v0
	s_delay_alu instid0(VALU_DEP_2) | instskip(NEXT) | instid1(VALU_DEP_2)
	v_fma_f32 v41, v222, v3, -v2
	v_fma_f32 v48, v126, v1, -v0
	ds_load_2addr_b64 v[0:3], v170 offset0:104 offset1:212
	s_waitcnt lgkmcnt(0)
	v_mul_f32_e32 v53, v125, v3
	v_mul_f32_e32 v17, v159, v1
	s_delay_alu instid0(VALU_DEP_2) | instskip(NEXT) | instid1(VALU_DEP_2)
	v_fmac_f32_e32 v53, v124, v2
	v_dual_mul_f32 v2, v125, v2 :: v_dual_fmac_f32 v17, v158, v0
	v_mul_f32_e32 v0, v159, v0
	s_delay_alu instid0(VALU_DEP_2) | instskip(NEXT) | instid1(VALU_DEP_2)
	v_fma_f32 v54, v124, v3, -v2
	v_fma_f32 v19, v158, v1, -v0
	ds_load_2addr_b64 v[0:3], v224 offset0:96 offset1:204
	s_waitcnt lgkmcnt(0)
	v_mul_f32_e32 v12, v157, v3
	v_mul_f32_e32 v26, v141, v1
	s_delay_alu instid0(VALU_DEP_2) | instskip(SKIP_1) | instid1(VALU_DEP_3)
	v_fmac_f32_e32 v12, v156, v2
	v_mul_f32_e32 v2, v157, v2
	v_fmac_f32_e32 v26, v140, v0
	v_mul_f32_e32 v0, v141, v0
	s_delay_alu instid0(VALU_DEP_3) | instskip(NEXT) | instid1(VALU_DEP_2)
	v_fma_f32 v13, v156, v3, -v2
	v_fma_f32 v27, v140, v1, -v0
	ds_load_2addr_b64 v[0:3], v171 offset0:16 offset1:124
	s_waitcnt lgkmcnt(0)
	v_mul_f32_e32 v28, v143, v3
	v_mul_f32_e32 v36, v119, v1
	s_delay_alu instid0(VALU_DEP_2) | instskip(SKIP_1) | instid1(VALU_DEP_3)
	v_fmac_f32_e32 v28, v142, v2
	v_mul_f32_e32 v2, v143, v2
	v_fmac_f32_e32 v36, v118, v0
	v_mul_f32_e32 v0, v119, v0
	s_delay_alu instid0(VALU_DEP_3) | instskip(NEXT) | instid1(VALU_DEP_2)
	;; [unrolled: 12-line block ×3, first 2 shown]
	v_fma_f32 v34, v116, v3, -v2
	v_fma_f32 v43, v195, v1, -v0
	ds_load_2addr_b64 v[0:3], v226 offset0:56 offset1:164
	s_waitcnt lgkmcnt(0)
	v_dual_mul_f32 v44, v198, v3 :: v_dual_mul_f32 v55, v231, v1
	s_delay_alu instid0(VALU_DEP_1) | instskip(SKIP_1) | instid1(VALU_DEP_3)
	v_fmac_f32_e32 v44, v197, v2
	v_mul_f32_e32 v2, v198, v2
	v_fmac_f32_e32 v55, v230, v0
	v_mul_f32_e32 v0, v231, v0
	s_delay_alu instid0(VALU_DEP_3) | instskip(NEXT) | instid1(VALU_DEP_2)
	v_fma_f32 v59, v197, v3, -v2
	v_fma_f32 v56, v230, v1, -v0
	ds_load_2addr_b64 v[0:3], v82 offset0:48 offset1:156
	s_waitcnt lgkmcnt(0)
	v_mul_f32_e32 v57, v229, v3
	s_delay_alu instid0(VALU_DEP_1) | instskip(SKIP_1) | instid1(VALU_DEP_1)
	v_fmac_f32_e32 v57, v228, v2
	v_mul_f32_e32 v2, v229, v2
	v_fma_f32 v58, v228, v3, -v2
	ds_load_2addr_b64 v[2:5], v178 offset1:108
	s_waitcnt lgkmcnt(0)
	v_add_f32_e32 v49, v2, v55
	s_delay_alu instid0(VALU_DEP_1) | instskip(SKIP_1) | instid1(VALU_DEP_1)
	v_add_f32_e32 v51, v49, v47
	v_add_f32_e32 v49, v3, v56
	;; [unrolled: 1-line block ×4, first 2 shown]
	s_delay_alu instid0(VALU_DEP_1) | instskip(NEXT) | instid1(VALU_DEP_1)
	v_dual_add_f32 v60, v49, v45 :: v_dual_add_f32 v49, v58, v54
	v_add_f32_e32 v61, v49, v46
	s_delay_alu instid0(VALU_DEP_2)
	v_add_f32_e32 v49, v51, v60
	v_sub_f32_e32 v51, v51, v60
	v_add_f32_e32 v60, v56, v48
	v_sub_f32_e32 v48, v56, v48
	;; [unrolled: 2-line block ×4, first 2 shown]
	v_fma_f32 v60, -0.5, v60, v3
	v_fmac_f32_e32 v58, -0.5, v56
	v_add_f32_e32 v56, v53, v45
	v_sub_f32_e32 v45, v53, v45
	v_add_f32_e32 v53, v55, v47
	v_sub_f32_e32 v47, v55, v47
	s_delay_alu instid0(VALU_DEP_3) | instskip(NEXT) | instid1(VALU_DEP_3)
	v_dual_fmac_f32 v57, -0.5, v56 :: v_dual_fmamk_f32 v54, v45, 0x3f5db3d7, v58
	v_fma_f32 v61, -0.5, v53, v2
	v_fmac_f32_e32 v58, 0xbf5db3d7, v45
	s_delay_alu instid0(VALU_DEP_3) | instskip(NEXT) | instid1(VALU_DEP_3)
	v_dual_fmamk_f32 v56, v46, 0xbf5db3d7, v57 :: v_dual_mul_f32 v55, 0xbf5db3d7, v54
	v_dual_mul_f32 v54, 0.5, v54 :: v_dual_fmamk_f32 v53, v48, 0xbf5db3d7, v61
	v_fmac_f32_e32 v57, 0x3f5db3d7, v46
	s_delay_alu instid0(VALU_DEP_4) | instskip(NEXT) | instid1(VALU_DEP_4)
	v_mul_f32_e32 v45, 0xbf5db3d7, v58
	v_fmac_f32_e32 v55, 0.5, v56
	s_delay_alu instid0(VALU_DEP_4) | instskip(SKIP_2) | instid1(VALU_DEP_4)
	v_fmac_f32_e32 v54, 0x3f5db3d7, v56
	v_fmamk_f32 v56, v47, 0x3f5db3d7, v60
	v_dual_mul_f32 v46, -0.5, v58 :: v_dual_fmac_f32 v61, 0x3f5db3d7, v48
	v_add_f32_e32 v2, v53, v55
	s_delay_alu instid0(VALU_DEP_3) | instskip(SKIP_1) | instid1(VALU_DEP_4)
	v_dual_fmac_f32 v60, 0xbf5db3d7, v47 :: v_dual_add_f32 v3, v56, v54
	v_fmac_f32_e32 v45, -0.5, v57
	v_dual_fmac_f32 v46, 0x3f5db3d7, v57 :: v_dual_sub_f32 v53, v53, v55
	v_sub_f32_e32 v54, v56, v54
	ds_store_b64 v178, v[2:3] offset:4320
	v_dual_add_f32 v55, v61, v45 :: v_dual_add_f32 v56, v60, v46
	v_dual_add_f32 v2, v4, v44 :: v_dual_sub_f32 v57, v61, v45
	v_sub_f32_e32 v58, v60, v46
	ds_load_2addr_b64 v[45:48], v130 offset0:88 offset1:196
	ds_store_b64 v178, v[55:56] offset:8640
	ds_store_b64 v178, v[51:52] offset:12960
	;; [unrolled: 1-line block ×4, first 2 shown]
	v_dual_add_f32 v51, v2, v40 :: v_dual_add_f32 v2, v5, v59
	s_delay_alu instid0(VALU_DEP_1) | instskip(SKIP_1) | instid1(VALU_DEP_1)
	v_dual_sub_f32 v55, v36, v30 :: v_dual_add_f32 v52, v2, v41
	v_add_f32_e32 v2, v42, v39
	v_dual_add_f32 v53, v2, v20 :: v_dual_add_f32 v2, v43, v38
	s_delay_alu instid0(VALU_DEP_1) | instskip(NEXT) | instid1(VALU_DEP_1)
	v_add_f32_e32 v54, v2, v21
	v_dual_add_f32 v2, v51, v53 :: v_dual_add_f32 v3, v52, v54
	ds_store_2addr_b64 v178, v[49:50], v[2:3] offset1:108
	v_dual_add_f32 v2, v59, v41 :: v_dual_add_f32 v3, v44, v40
	v_dual_sub_f32 v41, v59, v41 :: v_dual_sub_f32 v40, v44, v40
	s_delay_alu instid0(VALU_DEP_2) | instskip(SKIP_3) | instid1(VALU_DEP_4)
	v_dual_sub_f32 v50, v37, v31 :: v_dual_fmac_f32 v5, -0.5, v2
	v_add_f32_e32 v2, v38, v21
	v_sub_f32_e32 v38, v38, v21
	v_fma_f32 v4, -0.5, v3, v4
	v_fmamk_f32 v49, v40, 0x3f5db3d7, v5
	s_delay_alu instid0(VALU_DEP_4) | instskip(NEXT) | instid1(VALU_DEP_3)
	v_dual_fmac_f32 v43, -0.5, v2 :: v_dual_add_f32 v2, v39, v20
	v_dual_sub_f32 v39, v39, v20 :: v_dual_fmamk_f32 v44, v41, 0xbf5db3d7, v4
	v_fmac_f32_e32 v4, 0x3f5db3d7, v41
	s_delay_alu instid0(VALU_DEP_3) | instskip(NEXT) | instid1(VALU_DEP_3)
	v_dual_fmac_f32 v5, 0xbf5db3d7, v40 :: v_dual_fmac_f32 v42, -0.5, v2
	v_fmamk_f32 v2, v39, 0x3f5db3d7, v43
	s_delay_alu instid0(VALU_DEP_1) | instskip(NEXT) | instid1(VALU_DEP_3)
	v_dual_fmac_f32 v43, 0xbf5db3d7, v39 :: v_dual_mul_f32 v20, 0xbf5db3d7, v2
	v_dual_mul_f32 v21, 0.5, v2 :: v_dual_fmamk_f32 v2, v38, 0xbf5db3d7, v42
	v_fmac_f32_e32 v42, 0x3f5db3d7, v38
	s_delay_alu instid0(VALU_DEP_3) | instskip(NEXT) | instid1(VALU_DEP_3)
	v_mul_f32_e32 v40, 0xbf5db3d7, v43
	v_dual_mul_f32 v41, -0.5, v43 :: v_dual_fmac_f32 v20, 0.5, v2
	s_delay_alu instid0(VALU_DEP_4) | instskip(NEXT) | instid1(VALU_DEP_3)
	v_fmac_f32_e32 v21, 0x3f5db3d7, v2
	v_fmac_f32_e32 v40, -0.5, v42
	s_delay_alu instid0(VALU_DEP_3) | instskip(NEXT) | instid1(VALU_DEP_2)
	v_dual_fmac_f32 v41, 0x3f5db3d7, v42 :: v_dual_add_f32 v2, v44, v20
	v_dual_add_f32 v3, v49, v21 :: v_dual_add_f32 v38, v4, v40
	s_delay_alu instid0(VALU_DEP_2)
	v_dual_add_f32 v39, v5, v41 :: v_dual_sub_f32 v20, v44, v20
	v_sub_f32_e32 v21, v49, v21
	ds_store_b64 v178, v[38:39] offset:9504
	ds_store_b64 v178, v[20:21] offset:18144
	v_add_f32_e32 v20, v35, v18
	v_dual_add_f32 v38, v34, v35 :: v_dual_add_f32 v39, v32, v33
	s_delay_alu instid0(VALU_DEP_2) | instskip(SKIP_2) | instid1(VALU_DEP_4)
	v_dual_sub_f32 v35, v35, v18 :: v_dual_fmac_f32 v34, -0.5, v20
	v_add_f32_e32 v20, v33, v16
	v_sub_f32_e32 v33, v33, v16
	v_add_f32_e32 v16, v39, v16
	v_add_f32_e32 v18, v38, v18
	s_delay_alu instid0(VALU_DEP_4) | instskip(NEXT) | instid1(VALU_DEP_4)
	v_fmac_f32_e32 v32, -0.5, v20
	v_fmamk_f32 v20, v33, 0x3f5db3d7, v34
	v_fmac_f32_e32 v34, 0xbf5db3d7, v33
	s_delay_alu instid0(VALU_DEP_2) | instskip(NEXT) | instid1(VALU_DEP_4)
	v_mul_f32_e32 v42, 0xbf5db3d7, v20
	v_dual_mul_f32 v43, 0.5, v20 :: v_dual_fmamk_f32 v20, v35, 0xbf5db3d7, v32
	v_fmac_f32_e32 v32, 0x3f5db3d7, v35
	s_delay_alu instid0(VALU_DEP_2) | instskip(NEXT) | instid1(VALU_DEP_3)
	v_fmac_f32_e32 v42, 0.5, v20
	v_dual_fmac_f32 v43, 0x3f5db3d7, v20 :: v_dual_add_f32 v20, v36, v30
	s_waitcnt lgkmcnt(7)
	s_delay_alu instid0(VALU_DEP_1) | instskip(SKIP_1) | instid1(VALU_DEP_2)
	v_fma_f32 v44, -0.5, v20, v45
	v_add_f32_e32 v20, v37, v31
	v_fmamk_f32 v56, v50, 0xbf5db3d7, v44
	s_delay_alu instid0(VALU_DEP_2) | instskip(SKIP_1) | instid1(VALU_DEP_2)
	v_fma_f32 v49, -0.5, v20, v46
	v_fmac_f32_e32 v44, 0x3f5db3d7, v50
	v_dual_add_f32 v20, v56, v42 :: v_dual_fmamk_f32 v57, v55, 0x3f5db3d7, v49
	v_fmac_f32_e32 v49, 0xbf5db3d7, v55
	s_delay_alu instid0(VALU_DEP_2) | instskip(SKIP_3) | instid1(VALU_DEP_2)
	v_add_f32_e32 v21, v57, v43
	ds_store_2addr_b64 v225, v[2:3], v[20:21] offset0:136 offset1:244
	v_add_f32_e32 v20, v45, v36
	v_dual_sub_f32 v2, v51, v53 :: v_dual_sub_f32 v3, v52, v54
	v_add_f32_e32 v30, v20, v30
	v_add_f32_e32 v20, v46, v37
	s_delay_alu instid0(VALU_DEP_1) | instskip(NEXT) | instid1(VALU_DEP_1)
	v_dual_add_f32 v31, v20, v31 :: v_dual_sub_f32 v20, v30, v16
	v_sub_f32_e32 v21, v31, v18
	ds_store_2addr_b64 v71, v[2:3], v[20:21] offset0:64 offset1:172
	v_mul_f32_e32 v20, 0xbf5db3d7, v34
	v_mul_f32_e32 v21, -0.5, v34
	v_dual_sub_f32 v3, v5, v41 :: v_dual_sub_f32 v2, v4, v40
	s_delay_alu instid0(VALU_DEP_3) | instskip(NEXT) | instid1(VALU_DEP_3)
	v_fmac_f32_e32 v20, -0.5, v32
	v_fmac_f32_e32 v21, 0x3f5db3d7, v32
	s_delay_alu instid0(VALU_DEP_1) | instskip(SKIP_3) | instid1(VALU_DEP_2)
	v_dual_sub_f32 v4, v44, v20 :: v_dual_sub_f32 v5, v49, v21
	ds_store_2addr_b64 v81, v[2:3], v[4:5] offset0:120 offset1:228
	v_add_f32_e32 v4, v47, v28
	v_dual_add_f32 v2, v30, v16 :: v_dual_add_f32 v3, v31, v18
	v_add_f32_e32 v16, v4, v24
	v_add_f32_e32 v4, v48, v29
	s_delay_alu instid0(VALU_DEP_1) | instskip(SKIP_1) | instid1(VALU_DEP_1)
	v_add_f32_e32 v18, v4, v25
	v_add_f32_e32 v4, v26, v23
	;; [unrolled: 1-line block ×4, first 2 shown]
	s_delay_alu instid0(VALU_DEP_1) | instskip(NEXT) | instid1(VALU_DEP_1)
	v_add_f32_e32 v31, v4, v15
	v_dual_add_f32 v4, v16, v30 :: v_dual_add_f32 v5, v18, v31
	ds_store_2addr_b64 v130, v[2:3], v[4:5] offset0:88 offset1:196
	v_add_f32_e32 v3, v49, v21
	v_dual_add_f32 v4, v29, v25 :: v_dual_add_f32 v21, v22, v15
	v_add_f32_e32 v2, v44, v20
	v_dual_sub_f32 v20, v28, v24 :: v_dual_sub_f32 v5, v29, v25
	s_delay_alu instid0(VALU_DEP_3) | instskip(NEXT) | instid1(VALU_DEP_4)
	v_fmac_f32_e32 v48, -0.5, v4
	v_dual_add_f32 v4, v28, v24 :: v_dual_fmac_f32 v27, -0.5, v21
	v_add_f32_e32 v21, v23, v14
	v_sub_f32_e32 v14, v23, v14
	s_delay_alu instid0(VALU_DEP_3) | instskip(SKIP_1) | instid1(VALU_DEP_3)
	v_fma_f32 v23, -0.5, v4, v47
	v_sub_f32_e32 v4, v22, v15
	v_dual_fmac_f32 v26, -0.5, v21 :: v_dual_fmamk_f32 v21, v14, 0x3f5db3d7, v27
	v_fmac_f32_e32 v27, 0xbf5db3d7, v14
	v_fmamk_f32 v22, v20, 0x3f5db3d7, v48
	v_fmac_f32_e32 v48, 0xbf5db3d7, v20
	s_delay_alu instid0(VALU_DEP_4) | instskip(SKIP_4) | instid1(VALU_DEP_3)
	v_fmamk_f32 v20, v4, 0xbf5db3d7, v26
	v_fmac_f32_e32 v26, 0x3f5db3d7, v4
	v_mul_f32_e32 v25, 0xbf5db3d7, v27
	v_dual_mul_f32 v27, -0.5, v27 :: v_dual_fmamk_f32 v24, v5, 0xbf5db3d7, v23
	v_fmac_f32_e32 v23, 0x3f5db3d7, v5
	v_dual_add_f32 v14, v0, v17 :: v_dual_fmac_f32 v25, -0.5, v26
	s_delay_alu instid0(VALU_DEP_3) | instskip(SKIP_2) | instid1(VALU_DEP_3)
	v_fmac_f32_e32 v27, 0x3f5db3d7, v26
	v_mul_f32_e32 v29, 0xbf5db3d7, v21
	v_mul_f32_e32 v21, 0.5, v21
	v_dual_add_f32 v4, v23, v25 :: v_dual_add_f32 v5, v48, v27
	s_delay_alu instid0(VALU_DEP_3) | instskip(NEXT) | instid1(VALU_DEP_3)
	v_fmac_f32_e32 v29, 0.5, v20
	v_fmac_f32_e32 v21, 0x3f5db3d7, v20
	ds_store_2addr_b64 v171, v[2:3], v[4:5] offset0:16 offset1:124
	v_sub_f32_e32 v2, v16, v30
	v_add_f32_e32 v16, v14, v8
	v_add_f32_e32 v14, v1, v19
	v_dual_sub_f32 v3, v18, v31 :: v_dual_sub_f32 v4, v56, v42
	v_sub_f32_e32 v5, v57, v43
	s_delay_alu instid0(VALU_DEP_3)
	v_add_f32_e32 v18, v14, v11
	v_add_f32_e32 v14, v12, v10
	ds_store_b64 v178, v[2:3] offset:15552
	v_sub_f32_e32 v2, v24, v29
	v_sub_f32_e32 v3, v22, v21
	v_add_f32_e32 v26, v14, v6
	v_add_f32_e32 v14, v13, v9
	ds_store_2addr_b64 v177, v[4:5], v[2:3] offset0:72 offset1:180
	v_dual_sub_f32 v3, v48, v27 :: v_dual_sub_f32 v2, v23, v25
	v_add_f32_e32 v28, v14, v7
	v_add_f32_e32 v14, v16, v26
	;; [unrolled: 1-line block ×4, first 2 shown]
	s_delay_alu instid0(VALU_DEP_4) | instskip(SKIP_4) | instid1(VALU_DEP_2)
	v_add_f32_e32 v15, v18, v28
	ds_store_b64 v178, v[2:3] offset:24192
	ds_store_b64 v178, v[14:15] offset:3456
	v_dual_add_f32 v2, v19, v11 :: v_dual_add_f32 v3, v17, v8
	v_dual_sub_f32 v11, v19, v11 :: v_dual_sub_f32 v8, v17, v8
	v_dual_fmac_f32 v1, -0.5, v2 :: v_dual_add_f32 v2, v9, v7
	v_sub_f32_e32 v7, v9, v7
	s_delay_alu instid0(VALU_DEP_4) | instskip(NEXT) | instid1(VALU_DEP_3)
	v_fma_f32 v0, -0.5, v3, v0
	v_fmamk_f32 v15, v8, 0x3f5db3d7, v1
	s_delay_alu instid0(VALU_DEP_4) | instskip(SKIP_4) | instid1(VALU_DEP_4)
	v_fmac_f32_e32 v13, -0.5, v2
	v_add_f32_e32 v2, v10, v6
	v_sub_f32_e32 v6, v10, v6
	v_dual_fmamk_f32 v14, v11, 0xbf5db3d7, v0 :: v_dual_fmac_f32 v1, 0xbf5db3d7, v8
	v_fmac_f32_e32 v0, 0x3f5db3d7, v11
	v_fmac_f32_e32 v12, -0.5, v2
	s_delay_alu instid0(VALU_DEP_4) | instskip(SKIP_1) | instid1(VALU_DEP_2)
	v_fmamk_f32 v2, v6, 0x3f5db3d7, v13
	v_dual_fmac_f32 v13, 0xbf5db3d7, v6 :: v_dual_sub_f32 v6, v18, v28
	v_mul_f32_e32 v9, 0xbf5db3d7, v2
	v_mul_f32_e32 v10, 0.5, v2
	v_fmamk_f32 v2, v7, 0xbf5db3d7, v12
	s_delay_alu instid0(VALU_DEP_1) | instskip(NEXT) | instid1(VALU_DEP_3)
	v_dual_fmac_f32 v12, 0x3f5db3d7, v7 :: v_dual_fmac_f32 v9, 0.5, v2
	v_fmac_f32_e32 v10, 0x3f5db3d7, v2
	s_delay_alu instid0(VALU_DEP_1) | instskip(SKIP_4) | instid1(VALU_DEP_2)
	v_dual_add_f32 v2, v14, v9 :: v_dual_add_f32 v3, v15, v10
	v_dual_sub_f32 v7, v14, v9 :: v_dual_sub_f32 v8, v15, v10
	ds_store_2addr_b64 v224, v[4:5], v[2:3] offset0:96 offset1:204
	v_mul_f32_e32 v3, -0.5, v13
	v_sub_f32_e32 v5, v16, v26
	v_fmac_f32_e32 v3, 0x3f5db3d7, v12
	s_delay_alu instid0(VALU_DEP_1) | instskip(SKIP_1) | instid1(VALU_DEP_1)
	v_add_f32_e32 v2, v1, v3
	v_dual_sub_f32 v4, v1, v3 :: v_dual_mul_f32 v3, 0xbf5db3d7, v13
	v_fmac_f32_e32 v3, -0.5, v12
	s_delay_alu instid0(VALU_DEP_1)
	v_add_f32_e32 v1, v0, v3
	v_sub_f32_e32 v3, v0, v3
	ds_store_b64 v178, v[1:2] offset:12096
	ds_store_b64 v178, v[5:6] offset:16416
	;; [unrolled: 1-line block ×4, first 2 shown]
	s_waitcnt lgkmcnt(0)
	s_barrier
	buffer_gl0_inv
	scratch_load_b64 v[5:6], off, off offset:240 ; 8-byte Folded Reload
	ds_load_2addr_b64 v[1:4], v178 offset1:108
	s_clause 0x1
	scratch_load_b64 v[10:11], off, off offset:224
	scratch_load_b64 v[18:19], off, off offset:200
	ds_load_2addr_b64 v[14:17], v176 offset0:112 offset1:220
	s_clause 0x8
	scratch_load_b64 v[22:23], off, off offset:152
	scratch_load_b64 v[31:32], off, off offset:160
	scratch_load_b64 v[24:25], off, off offset:176
	scratch_load_b64 v[29:30], off, off offset:144
	scratch_load_b64 v[33:34], off, off offset:96
	scratch_load_b64 v[42:43], off, off offset:128
	scratch_load_b64 v[38:39], off, off offset:104
	scratch_load_b64 v[44:45], off, off offset:64
	scratch_load_b32 v46, off, off offset:248
	s_waitcnt vmcnt(11) lgkmcnt(1)
	v_mul_f32_e32 v0, v6, v2
	s_delay_alu instid0(VALU_DEP_1) | instskip(SKIP_1) | instid1(VALU_DEP_1)
	v_fmac_f32_e32 v0, v5, v1
	v_mul_f32_e32 v1, v6, v1
	v_fma_f32 v1, v5, v2, -v1
	scratch_load_b64 v[5:6], off, off offset:232 ; 8-byte Folded Reload
	s_waitcnt vmcnt(0)
	v_mul_f32_e32 v2, v6, v4
	s_delay_alu instid0(VALU_DEP_1)
	v_fmac_f32_e32 v2, v5, v3
	v_mul_f32_e32 v3, v6, v3
	ds_load_2addr_b64 v[6:9], v226 offset0:56 offset1:164
	v_fma_f32 v3, v5, v4, -v3
	s_waitcnt lgkmcnt(0)
	v_mul_f32_e32 v4, v11, v7
	v_mul_f32_e32 v5, v11, v6
	s_delay_alu instid0(VALU_DEP_2) | instskip(NEXT) | instid1(VALU_DEP_2)
	v_fmac_f32_e32 v4, v10, v6
	v_fma_f32 v5, v10, v7, -v5
	scratch_load_b64 v[10:11], off, off offset:208 ; 8-byte Folded Reload
	s_waitcnt vmcnt(0)
	v_mul_f32_e32 v7, v11, v9
	v_mul_f32_e32 v6, v11, v8
	s_delay_alu instid0(VALU_DEP_2) | instskip(NEXT) | instid1(VALU_DEP_2)
	v_fmac_f32_e32 v7, v10, v8
	v_fma_f32 v11, v10, v9, -v6
	scratch_load_b64 v[8:9], off, off offset:192 ; 8-byte Folded Reload
	v_cvt_f64_f32_e32 v[48:49], v11
	s_waitcnt vmcnt(0)
	v_mul_f32_e32 v13, v9, v15
	v_dual_mul_f32 v6, v9, v14 :: v_dual_mul_f32 v9, v19, v17
	s_delay_alu instid0(VALU_DEP_2) | instskip(NEXT) | instid1(VALU_DEP_2)
	v_fmac_f32_e32 v13, v8, v14
	v_fma_f32 v14, v8, v15, -v6
	v_mul_f32_e32 v6, v19, v16
	scratch_load_b64 v[19:20], off, off offset:216 ; 8-byte Folded Reload
	v_fmac_f32_e32 v9, v18, v16
	v_fma_f32 v8, v18, v17, -v6
	ds_load_2addr_b64 v[15:18], v130 offset0:88 offset1:196
	s_waitcnt vmcnt(0) lgkmcnt(0)
	v_mul_f32_e32 v6, v20, v16
	v_mul_f32_e32 v10, v20, v15
	s_delay_alu instid0(VALU_DEP_2) | instskip(NEXT) | instid1(VALU_DEP_2)
	v_fmac_f32_e32 v6, v19, v15
	v_fma_f32 v10, v19, v16, -v10
	scratch_load_b64 v[19:20], off, off offset:184 ; 8-byte Folded Reload
	s_waitcnt vmcnt(0)
	v_mul_f32_e32 v12, v20, v18
	v_mul_f32_e32 v15, v20, v17
	s_delay_alu instid0(VALU_DEP_2) | instskip(NEXT) | instid1(VALU_DEP_2)
	v_fmac_f32_e32 v12, v19, v17
	v_fma_f32 v16, v19, v18, -v15
	ds_load_2addr_b64 v[17:20], v171 offset0:16 offset1:124
	s_waitcnt lgkmcnt(0)
	v_mul_f32_e32 v21, v23, v18
	v_mul_f32_e32 v15, v23, v17
	s_delay_alu instid0(VALU_DEP_2) | instskip(NEXT) | instid1(VALU_DEP_2)
	v_fmac_f32_e32 v21, v22, v17
	v_fma_f32 v23, v22, v18, -v15
	v_mul_f32_e32 v15, v25, v20
	v_mul_f32_e32 v17, v25, v19
	ds_load_2addr_b64 v[25:28], v177 offset0:72 offset1:180
	v_fmac_f32_e32 v15, v24, v19
	v_fma_f32 v19, v24, v20, -v17
	s_waitcnt lgkmcnt(0)
	v_mul_f32_e32 v24, v30, v26
	v_mul_f32_e32 v17, v30, v25
	s_delay_alu instid0(VALU_DEP_2) | instskip(NEXT) | instid1(VALU_DEP_2)
	v_fmac_f32_e32 v24, v29, v25
	v_fma_f32 v25, v29, v26, -v17
	scratch_load_b64 v[29:30], off, off offset:168 ; 8-byte Folded Reload
	s_waitcnt vmcnt(0)
	v_mul_f32_e32 v18, v30, v28
	v_mul_f32_e32 v17, v30, v27
	s_delay_alu instid0(VALU_DEP_2) | instskip(NEXT) | instid1(VALU_DEP_2)
	v_fmac_f32_e32 v18, v29, v27
	v_fma_f32 v22, v29, v28, -v17
	ds_load_2addr_b64 v[27:30], v82 offset0:48 offset1:156
	s_waitcnt lgkmcnt(0)
	v_mul_f32_e32 v17, v32, v28
	v_mul_f32_e32 v20, v32, v27
	s_delay_alu instid0(VALU_DEP_2) | instskip(NEXT) | instid1(VALU_DEP_2)
	v_fmac_f32_e32 v17, v31, v27
	v_fma_f32 v20, v31, v28, -v20
	scratch_load_b64 v[31:32], off, off offset:112 ; 8-byte Folded Reload
	s_waitcnt vmcnt(0)
	v_mul_f32_e32 v28, v32, v30
	v_mul_f32_e32 v26, v32, v29
	s_delay_alu instid0(VALU_DEP_2) | instskip(NEXT) | instid1(VALU_DEP_2)
	v_fmac_f32_e32 v28, v31, v29
	v_fma_f32 v26, v31, v30, -v26
	ds_load_2addr_b64 v[29:32], v170 offset0:104 offset1:212
	;; [unrolled: 14-line block ×3, first 2 shown]
	s_waitcnt lgkmcnt(0)
	v_mul_f32_e32 v34, v39, v31
	s_delay_alu instid0(VALU_DEP_1) | instskip(SKIP_1) | instid1(VALU_DEP_1)
	v_fmac_f32_e32 v34, v38, v30
	v_mul_f32_e32 v30, v39, v30
	v_fma_f32 v35, v38, v31, -v30
	scratch_load_b64 v[38:39], off, off offset:136 ; 8-byte Folded Reload
	s_waitcnt vmcnt(0)
	v_mul_f32_e32 v30, v39, v33
	v_mul_f32_e32 v31, v39, v32
	s_delay_alu instid0(VALU_DEP_2) | instskip(NEXT) | instid1(VALU_DEP_2)
	v_fmac_f32_e32 v30, v38, v32
	v_fma_f32 v33, v38, v33, -v31
	ds_load_2addr_b64 v[38:41], v225 offset0:136 offset1:244
	s_waitcnt lgkmcnt(0)
	v_mul_f32_e32 v31, v43, v39
	v_mul_f32_e32 v32, v43, v38
	s_delay_alu instid0(VALU_DEP_2) | instskip(NEXT) | instid1(VALU_DEP_2)
	v_fmac_f32_e32 v31, v42, v38
	v_fma_f32 v32, v42, v39, -v32
	scratch_load_b64 v[42:43], off, off offset:88 ; 8-byte Folded Reload
	s_waitcnt vmcnt(0)
	v_mul_f32_e32 v38, v43, v41
	v_mul_f32_e32 v39, v43, v40
	s_delay_alu instid0(VALU_DEP_2) | instskip(NEXT) | instid1(VALU_DEP_2)
	v_fmac_f32_e32 v38, v42, v40
	v_fma_f32 v39, v42, v41, -v39
	ds_load_2addr_b64 v[40:43], v71 offset0:64 offset1:172
	s_waitcnt lgkmcnt(0)
	v_mul_f32_e32 v50, v45, v41
	s_delay_alu instid0(VALU_DEP_1) | instskip(SKIP_1) | instid1(VALU_DEP_1)
	v_fmac_f32_e32 v50, v44, v40
	v_mul_f32_e32 v40, v45, v40
	v_fma_f32 v51, v44, v41, -v40
	scratch_load_b64 v[40:41], off, off offset:80 ; 8-byte Folded Reload
	s_waitcnt vmcnt(0)
	v_mul_f32_e32 v52, v41, v43
	v_dual_mov_b32 v45, v41 :: v_dual_mov_b32 v44, v40
	s_delay_alu instid0(VALU_DEP_2) | instskip(NEXT) | instid1(VALU_DEP_2)
	v_fmac_f32_e32 v52, v40, v42
	v_mul_f32_e32 v40, v45, v42
	s_delay_alu instid0(VALU_DEP_1) | instskip(SKIP_4) | instid1(VALU_DEP_1)
	v_fma_f32 v53, v44, v43, -v40
	scratch_load_b64 v[44:45], off, off offset:40 ; 8-byte Folded Reload
	ds_load_2addr_b64 v[40:43], v81 offset0:120 offset1:228
	s_waitcnt vmcnt(0) lgkmcnt(0)
	v_mul_f32_e32 v54, v45, v41
	v_fmac_f32_e32 v54, v44, v40
	v_mul_f32_e32 v40, v45, v40
	s_delay_alu instid0(VALU_DEP_1) | instskip(SKIP_4) | instid1(VALU_DEP_2)
	v_fma_f32 v55, v44, v41, -v40
	scratch_load_b64 v[44:45], off, off offset:56 ; 8-byte Folded Reload
	s_waitcnt vmcnt(0)
	v_mul_f32_e32 v56, v45, v43
	v_mul_f32_e32 v40, v45, v42
	v_fmac_f32_e32 v56, v44, v42
	s_delay_alu instid0(VALU_DEP_2) | instskip(SKIP_4) | instid1(VALU_DEP_1)
	v_fma_f32 v57, v44, v43, -v40
	scratch_load_b64 v[44:45], off, off offset:72 ; 8-byte Folded Reload
	ds_load_2addr_b64 v[40:43], v224 offset0:96 offset1:204
	s_waitcnt vmcnt(0) lgkmcnt(0)
	v_mul_f32_e32 v58, v45, v41
	v_fmac_f32_e32 v58, v44, v40
	v_mul_f32_e32 v40, v45, v40
	s_delay_alu instid0(VALU_DEP_1) | instskip(SKIP_4) | instid1(VALU_DEP_2)
	v_fma_f32 v59, v44, v41, -v40
	scratch_load_b64 v[44:45], off, off offset:48 ; 8-byte Folded Reload
	s_waitcnt vmcnt(0)
	v_mul_f32_e32 v60, v45, v43
	v_mul_f32_e32 v40, v45, v42
	v_fmac_f32_e32 v60, v44, v42
	s_delay_alu instid0(VALU_DEP_2) | instskip(SKIP_4) | instid1(VALU_DEP_1)
	;; [unrolled: 15-line block ×3, first 2 shown]
	v_fma_f32 v65, v44, v43, -v40
	scratch_load_b64 v[44:45], off, off offset:16 ; 8-byte Folded Reload
	ds_load_2addr_b64 v[40:43], v68 offset0:80 offset1:188
	s_waitcnt vmcnt(0) lgkmcnt(0)
	v_mul_f32_e32 v66, v45, v41
	v_fmac_f32_e32 v66, v44, v40
	v_mul_f32_e32 v40, v45, v40
	s_delay_alu instid0(VALU_DEP_1) | instskip(SKIP_4) | instid1(VALU_DEP_2)
	v_fma_f32 v67, v44, v41, -v40
	scratch_load_b64 v[44:45], off, off offset:24 ; 8-byte Folded Reload
	s_waitcnt vmcnt(0)
	v_mul_f32_e32 v68, v45, v43
	v_mul_f32_e32 v40, v45, v42
	v_fmac_f32_e32 v68, v44, v42
	s_delay_alu instid0(VALU_DEP_2) | instskip(SKIP_4) | instid1(SALU_CYCLE_1)
	v_fma_f32 v69, v44, v43, -v40
	scratch_load_b64 v[44:45], off, off     ; 8-byte Folded Reload
	s_waitcnt vmcnt(0)
	v_mad_u64_u32 v[40:41], null, s6, v44, 0
	s_mul_hi_u32 s6, s4, 0xffffbfe0
	s_sub_i32 s6, s6, s4
	s_delay_alu instid0(VALU_DEP_1) | instskip(SKIP_2) | instid1(VALU_DEP_1)
	v_mad_u64_u32 v[42:43], null, s7, v44, v[41:42]
	v_mad_u64_u32 v[43:44], null, s4, v46, 0
	s_mulk_i32 s4, 0xbfe0
	v_dual_mov_b32 v41, v42 :: v_dual_mov_b32 v42, v44
	s_delay_alu instid0(VALU_DEP_1) | instskip(NEXT) | instid1(VALU_DEP_2)
	v_lshlrev_b64 v[40:41], 3, v[40:41]
	v_mad_u64_u32 v[44:45], null, s5, v46, v[42:43]
	v_cvt_f64_f32_e32 v[45:46], v0
	v_cvt_f64_f32_e32 v[0:1], v1
	s_delay_alu instid0(VALU_DEP_4)
	v_add_co_u32 v40, vcc_lo, s0, v40
	v_add_co_ci_u32_e32 v41, vcc_lo, s1, v41, vcc_lo
	v_lshlrev_b64 v[42:43], 3, v[43:44]
	s_mov_b32 s0, 0x30abee4d
	s_mov_b32 s1, 0x3f343a27
	s_mulk_i32 s5, 0xbfe0
	v_mul_f64 v[48:49], v[48:49], s[0:1]
	s_add_i32 s5, s6, s5
	v_add_co_u32 v40, vcc_lo, v40, v42
	v_add_co_ci_u32_e32 v41, vcc_lo, v41, v43, vcc_lo
	v_cvt_f64_f32_e32 v[42:43], v4
	v_cvt_f64_f32_e32 v[4:5], v5
	v_mul_f64 v[44:45], v[45:46], s[0:1]
	v_mul_f64 v[0:1], v[0:1], s[0:1]
	v_cvt_f64_f32_e32 v[46:47], v13
	v_cvt_f64_f32_e32 v[13:14], v14
	v_mul_f64 v[42:43], v[42:43], s[0:1]
	v_mul_f64 v[4:5], v[4:5], s[0:1]
	v_cvt_f32_f64_e32 v44, v[44:45]
	v_cvt_f32_f64_e32 v45, v[0:1]
	v_cvt_f64_f32_e32 v[0:1], v2
	v_cvt_f64_f32_e32 v[2:3], v3
	v_mul_f64 v[46:47], v[46:47], s[0:1]
	v_mul_f64 v[13:14], v[13:14], s[0:1]
	v_cvt_f32_f64_e32 v42, v[42:43]
	v_cvt_f32_f64_e32 v43, v[4:5]
	v_cvt_f64_f32_e32 v[4:5], v7
	v_cvt_f64_f32_e32 v[7:8], v8
	global_store_b64 v[40:41], v[44:45], off
	v_mul_f64 v[0:1], v[0:1], s[0:1]
	v_mul_f64 v[2:3], v[2:3], s[0:1]
	v_cvt_f32_f64_e32 v46, v[46:47]
	v_cvt_f32_f64_e32 v47, v[13:14]
	v_cvt_f64_f32_e32 v[13:14], v9
	v_cvt_f64_f32_e32 v[9:10], v10
	v_add_co_u32 v40, vcc_lo, v40, s3
	v_add_co_ci_u32_e32 v41, vcc_lo, s2, v41, vcc_lo
	s_delay_alu instid0(VALU_DEP_2) | instskip(NEXT) | instid1(VALU_DEP_2)
	v_add_co_u32 v44, vcc_lo, v40, s3
	v_add_co_ci_u32_e32 v45, vcc_lo, s2, v41, vcc_lo
	global_store_b64 v[40:41], v[42:43], off
	v_mul_f64 v[4:5], v[4:5], s[0:1]
	v_cvt_f64_f32_e32 v[40:41], v23
	v_cvt_f64_f32_e32 v[23:24], v24
	;; [unrolled: 1-line block ×3, first 2 shown]
	v_cvt_f32_f64_e32 v0, v[0:1]
	v_cvt_f32_f64_e32 v1, v[2:3]
	v_cvt_f64_f32_e32 v[2:3], v6
	v_mul_f64 v[6:7], v[7:8], s[0:1]
	v_mul_f64 v[13:14], v[13:14], s[0:1]
	global_store_b64 v[44:45], v[46:47], off
	v_add_co_u32 v44, vcc_lo, v44, s4
	v_add_co_ci_u32_e32 v45, vcc_lo, s5, v45, vcc_lo
	v_mul_f64 v[8:9], v[9:10], s[0:1]
	v_cvt_f64_f32_e32 v[10:11], v21
	v_cvt_f64_f32_e32 v[46:47], v12
	;; [unrolled: 1-line block ×3, first 2 shown]
	v_cvt_f32_f64_e32 v4, v[4:5]
	v_cvt_f32_f64_e32 v5, v[48:49]
	v_cvt_f64_f32_e32 v[48:49], v16
	v_mul_f64 v[23:24], v[23:24], s[0:1]
	global_store_b64 v[44:45], v[0:1], off
	v_mul_f64 v[2:3], v[2:3], s[0:1]
	v_add_co_u32 v0, vcc_lo, v44, s3
	v_add_co_ci_u32_e32 v1, vcc_lo, s2, v45, vcc_lo
	v_cvt_f64_f32_e32 v[44:45], v19
	v_cvt_f64_f32_e32 v[18:19], v18
	v_cvt_f32_f64_e32 v12, v[13:14]
	v_cvt_f64_f32_e32 v[14:15], v15
	v_cvt_f32_f64_e32 v13, v[6:7]
	v_cvt_f64_f32_e32 v[6:7], v20
	v_mul_f64 v[20:21], v[21:22], s[0:1]
	global_store_b64 v[0:1], v[4:5], off
	v_cvt_f64_f32_e32 v[4:5], v17
	v_cvt_f64_f32_e32 v[16:17], v36
	;; [unrolled: 1-line block ×3, first 2 shown]
	v_add_co_u32 v0, vcc_lo, v0, s3
	v_add_co_ci_u32_e32 v1, vcc_lo, s2, v1, vcc_lo
	v_cvt_f32_f64_e32 v2, v[2:3]
	v_cvt_f32_f64_e32 v3, v[8:9]
	v_mul_f64 v[8:9], v[10:11], s[0:1]
	v_mul_f64 v[10:11], v[40:41], s[0:1]
	;; [unrolled: 1-line block ×5, first 2 shown]
	v_cvt_f64_f32_e32 v[48:49], v34
	v_cvt_f64_f32_e32 v[34:35], v35
	v_mul_f64 v[18:19], v[18:19], s[0:1]
	v_mul_f64 v[14:15], v[14:15], s[0:1]
	;; [unrolled: 1-line block ×4, first 2 shown]
	global_store_b64 v[0:1], v[12:13], off
	v_cvt_f64_f32_e32 v[12:13], v28
	v_cvt_f64_f32_e32 v[28:29], v29
	v_mul_f64 v[4:5], v[4:5], s[0:1]
	v_mul_f64 v[16:17], v[16:17], s[0:1]
	;; [unrolled: 1-line block ×3, first 2 shown]
	v_add_co_u32 v0, vcc_lo, v0, s4
	v_add_co_ci_u32_e32 v1, vcc_lo, s5, v1, vcc_lo
	global_store_b64 v[0:1], v[2:3], off
	v_cvt_f32_f64_e32 v8, v[8:9]
	v_cvt_f32_f64_e32 v9, v[10:11]
	;; [unrolled: 1-line block ×5, first 2 shown]
	v_mul_f64 v[24:25], v[48:49], s[0:1]
	v_mul_f64 v[34:35], v[34:35], s[0:1]
	v_cvt_f64_f32_e32 v[40:41], v26
	v_cvt_f64_f32_e32 v[26:27], v27
	;; [unrolled: 1-line block ×3, first 2 shown]
	v_cvt_f32_f64_e32 v23, v[46:47]
	v_cvt_f64_f32_e32 v[46:47], v33
	v_cvt_f32_f64_e32 v18, v[18:19]
	v_cvt_f32_f64_e32 v19, v[20:21]
	v_cvt_f64_f32_e32 v[20:21], v31
	v_cvt_f64_f32_e32 v[30:31], v32
	v_cvt_f32_f64_e32 v14, v[14:15]
	v_cvt_f32_f64_e32 v15, v[44:45]
	;; [unrolled: 1-line block ×6, first 2 shown]
	v_add_co_u32 v48, vcc_lo, v0, s3
	v_add_co_ci_u32_e32 v49, vcc_lo, s2, v1, vcc_lo
	v_mul_f64 v[2:3], v[12:13], s[0:1]
	s_delay_alu instid0(VALU_DEP_3) | instskip(NEXT) | instid1(VALU_DEP_3)
	v_add_co_u32 v32, vcc_lo, v48, s3
	v_add_co_ci_u32_e32 v33, vcc_lo, s2, v49, vcc_lo
	v_mul_f64 v[28:29], v[28:29], s[0:1]
	s_delay_alu instid0(VALU_DEP_3) | instskip(NEXT) | instid1(VALU_DEP_3)
	v_add_co_u32 v0, vcc_lo, v32, s4
	v_add_co_ci_u32_e32 v1, vcc_lo, s5, v33, vcc_lo
	v_cvt_f64_f32_e32 v[44:45], v61
	s_delay_alu instid0(VALU_DEP_3) | instskip(NEXT) | instid1(VALU_DEP_3)
	v_add_co_u32 v12, vcc_lo, v0, s3
	v_add_co_ci_u32_e32 v13, vcc_lo, s2, v1, vcc_lo
	global_store_b64 v[48:49], v[8:9], off
	v_add_co_u32 v8, vcc_lo, v12, s3
	v_add_co_ci_u32_e32 v9, vcc_lo, s2, v13, vcc_lo
	v_cvt_f32_f64_e32 v16, v[24:25]
	v_cvt_f32_f64_e32 v17, v[34:35]
	v_mul_f64 v[24:25], v[40:41], s[0:1]
	v_mul_f64 v[26:27], v[26:27], s[0:1]
	;; [unrolled: 1-line block ×4, first 2 shown]
	v_add_co_u32 v40, vcc_lo, v8, s4
	v_mul_f64 v[20:21], v[20:21], s[0:1]
	v_mul_f64 v[30:31], v[30:31], s[0:1]
	v_add_co_ci_u32_e32 v41, vcc_lo, s5, v9, vcc_lo
	global_store_b64 v[32:33], v[10:11], off
	v_add_co_u32 v10, vcc_lo, v40, s3
	v_add_co_ci_u32_e32 v11, vcc_lo, s2, v41, vcc_lo
	global_store_b64 v[0:1], v[22:23], off
	global_store_b64 v[12:13], v[14:15], off
	global_store_b64 v[8:9], v[18:19], off
	global_store_b64 v[40:41], v[4:5], off
	global_store_b64 v[10:11], v[6:7], off
	v_cvt_f64_f32_e32 v[0:1], v50
	v_cvt_f64_f32_e32 v[4:5], v51
	v_add_co_u32 v6, vcc_lo, v10, s3
	v_add_co_ci_u32_e32 v7, vcc_lo, s2, v11, vcc_lo
	v_cvt_f64_f32_e32 v[8:9], v54
	v_cvt_f64_f32_e32 v[10:11], v55
	;; [unrolled: 1-line block ×10, first 2 shown]
	v_cvt_f32_f64_e32 v2, v[2:3]
	v_cvt_f64_f32_e32 v[46:47], v64
	v_cvt_f64_f32_e32 v[48:49], v65
	;; [unrolled: 1-line block ×4, first 2 shown]
	global_store_b64 v[6:7], v[16:17], off
	v_cvt_f32_f64_e32 v3, v[24:25]
	v_cvt_f32_f64_e32 v24, v[26:27]
	;; [unrolled: 1-line block ×4, first 2 shown]
	v_cvt_f64_f32_e32 v[28:29], v62
	v_cvt_f64_f32_e32 v[34:35], v63
	v_cvt_f32_f64_e32 v27, v[36:37]
	v_cvt_f64_f32_e32 v[16:17], v66
	v_cvt_f64_f32_e32 v[36:37], v67
	v_cvt_f32_f64_e32 v20, v[20:21]
	v_cvt_f32_f64_e32 v21, v[30:31]
	v_cvt_f64_f32_e32 v[30:31], v60
	v_add_co_u32 v6, vcc_lo, v6, s4
	v_add_co_ci_u32_e32 v7, vcc_lo, s5, v7, vcc_lo
	v_mul_f64 v[0:1], v[0:1], s[0:1]
	v_mul_f64 v[4:5], v[4:5], s[0:1]
	s_delay_alu instid0(VALU_DEP_4) | instskip(NEXT) | instid1(VALU_DEP_4)
	v_add_co_u32 v54, vcc_lo, v6, s3
	v_add_co_ci_u32_e32 v55, vcc_lo, s2, v7, vcc_lo
	v_mul_f64 v[8:9], v[8:9], s[0:1]
	v_mul_f64 v[10:11], v[10:11], s[0:1]
	;; [unrolled: 1-line block ×6, first 2 shown]
	v_add_co_u32 v56, vcc_lo, v54, s3
	v_mul_f64 v[32:33], v[32:33], s[0:1]
	v_add_co_ci_u32_e32 v57, vcc_lo, s2, v55, vcc_lo
	v_mul_f64 v[38:39], v[38:39], s[0:1]
	v_mul_f64 v[40:41], v[40:41], s[0:1]
	;; [unrolled: 1-line block ×3, first 2 shown]
	v_add_co_u32 v58, vcc_lo, v56, s4
	v_add_co_ci_u32_e32 v59, vcc_lo, s5, v57, vcc_lo
	global_store_b64 v[6:7], v[2:3], off
	global_store_b64 v[54:55], v[24:25], off
	;; [unrolled: 1-line block ×4, first 2 shown]
	v_mul_f64 v[28:29], v[28:29], s[0:1]
	v_mul_f64 v[34:35], v[34:35], s[0:1]
	;; [unrolled: 1-line block ×10, first 2 shown]
	v_cvt_f32_f64_e32 v0, v[0:1]
	v_cvt_f32_f64_e32 v1, v[4:5]
	v_add_co_u32 v4, vcc_lo, v58, s3
	v_cvt_f32_f64_e32 v8, v[8:9]
	v_cvt_f32_f64_e32 v9, v[10:11]
	v_add_co_ci_u32_e32 v5, vcc_lo, s2, v59, vcc_lo
	v_cvt_f32_f64_e32 v10, v[12:13]
	v_cvt_f32_f64_e32 v11, v[14:15]
	;; [unrolled: 1-line block ×3, first 2 shown]
	v_add_co_u32 v22, vcc_lo, v4, s3
	v_cvt_f32_f64_e32 v12, v[18:19]
	v_add_co_ci_u32_e32 v23, vcc_lo, s2, v5, vcc_lo
	v_cvt_f32_f64_e32 v14, v[32:33]
	s_delay_alu instid0(VALU_DEP_4)
	v_add_co_u32 v32, vcc_lo, v22, s4
	v_cvt_f32_f64_e32 v15, v[38:39]
	v_cvt_f32_f64_e32 v18, v[40:41]
	;; [unrolled: 1-line block ×3, first 2 shown]
	v_add_co_ci_u32_e32 v33, vcc_lo, s5, v23, vcc_lo
	v_cvt_f32_f64_e32 v28, v[28:29]
	v_cvt_f32_f64_e32 v29, v[34:35]
	v_add_co_u32 v34, vcc_lo, v32, s3
	v_cvt_f32_f64_e32 v16, v[16:17]
	v_cvt_f32_f64_e32 v17, v[36:37]
	v_add_co_ci_u32_e32 v35, vcc_lo, s2, v33, vcc_lo
	v_cvt_f32_f64_e32 v2, v[2:3]
	v_cvt_f32_f64_e32 v3, v[6:7]
	;; [unrolled: 1-line block ×6, first 2 shown]
	v_add_co_u32 v24, vcc_lo, v34, s3
	v_add_co_ci_u32_e32 v25, vcc_lo, s2, v35, vcc_lo
	global_store_b64 v[4:5], v[0:1], off
	v_add_co_u32 v0, vcc_lo, v24, s4
	v_add_co_ci_u32_e32 v1, vcc_lo, s5, v25, vcc_lo
	global_store_b64 v[22:23], v[8:9], off
	;; [unrolled: 3-line block ×7, first 2 shown]
	global_store_b64 v[8:9], v[16:17], off
	global_store_b64 v[10:11], v[2:3], off
	;; [unrolled: 1-line block ×4, first 2 shown]
.LBB0_2:
	s_nop 0
	s_sendmsg sendmsg(MSG_DEALLOC_VGPRS)
	s_endpgm
	.section	.rodata,"a",@progbits
	.p2align	6, 0x0
	.amdhsa_kernel bluestein_single_back_len3240_dim1_sp_op_CI_CI
		.amdhsa_group_segment_fixed_size 25920
		.amdhsa_private_segment_fixed_size 576
		.amdhsa_kernarg_size 104
		.amdhsa_user_sgpr_count 15
		.amdhsa_user_sgpr_dispatch_ptr 0
		.amdhsa_user_sgpr_queue_ptr 0
		.amdhsa_user_sgpr_kernarg_segment_ptr 1
		.amdhsa_user_sgpr_dispatch_id 0
		.amdhsa_user_sgpr_private_segment_size 0
		.amdhsa_wavefront_size32 1
		.amdhsa_uses_dynamic_stack 0
		.amdhsa_enable_private_segment 1
		.amdhsa_system_sgpr_workgroup_id_x 1
		.amdhsa_system_sgpr_workgroup_id_y 0
		.amdhsa_system_sgpr_workgroup_id_z 0
		.amdhsa_system_sgpr_workgroup_info 0
		.amdhsa_system_vgpr_workitem_id 0
		.amdhsa_next_free_vgpr 256
		.amdhsa_next_free_sgpr 20
		.amdhsa_reserve_vcc 1
		.amdhsa_float_round_mode_32 0
		.amdhsa_float_round_mode_16_64 0
		.amdhsa_float_denorm_mode_32 3
		.amdhsa_float_denorm_mode_16_64 3
		.amdhsa_dx10_clamp 1
		.amdhsa_ieee_mode 1
		.amdhsa_fp16_overflow 0
		.amdhsa_workgroup_processor_mode 1
		.amdhsa_memory_ordered 1
		.amdhsa_forward_progress 0
		.amdhsa_shared_vgpr_count 0
		.amdhsa_exception_fp_ieee_invalid_op 0
		.amdhsa_exception_fp_denorm_src 0
		.amdhsa_exception_fp_ieee_div_zero 0
		.amdhsa_exception_fp_ieee_overflow 0
		.amdhsa_exception_fp_ieee_underflow 0
		.amdhsa_exception_fp_ieee_inexact 0
		.amdhsa_exception_int_div_zero 0
	.end_amdhsa_kernel
	.text
.Lfunc_end0:
	.size	bluestein_single_back_len3240_dim1_sp_op_CI_CI, .Lfunc_end0-bluestein_single_back_len3240_dim1_sp_op_CI_CI
                                        ; -- End function
	.section	.AMDGPU.csdata,"",@progbits
; Kernel info:
; codeLenInByte = 33936
; NumSgprs: 22
; NumVgprs: 256
; ScratchSize: 576
; MemoryBound: 0
; FloatMode: 240
; IeeeMode: 1
; LDSByteSize: 25920 bytes/workgroup (compile time only)
; SGPRBlocks: 2
; VGPRBlocks: 31
; NumSGPRsForWavesPerEU: 22
; NumVGPRsForWavesPerEU: 256
; Occupancy: 5
; WaveLimiterHint : 1
; COMPUTE_PGM_RSRC2:SCRATCH_EN: 1
; COMPUTE_PGM_RSRC2:USER_SGPR: 15
; COMPUTE_PGM_RSRC2:TRAP_HANDLER: 0
; COMPUTE_PGM_RSRC2:TGID_X_EN: 1
; COMPUTE_PGM_RSRC2:TGID_Y_EN: 0
; COMPUTE_PGM_RSRC2:TGID_Z_EN: 0
; COMPUTE_PGM_RSRC2:TIDIG_COMP_CNT: 0
	.text
	.p2alignl 7, 3214868480
	.fill 96, 4, 3214868480
	.type	__hip_cuid_d299926bfd239563,@object ; @__hip_cuid_d299926bfd239563
	.section	.bss,"aw",@nobits
	.globl	__hip_cuid_d299926bfd239563
__hip_cuid_d299926bfd239563:
	.byte	0                               ; 0x0
	.size	__hip_cuid_d299926bfd239563, 1

	.ident	"AMD clang version 19.0.0git (https://github.com/RadeonOpenCompute/llvm-project roc-6.4.0 25133 c7fe45cf4b819c5991fe208aaa96edf142730f1d)"
	.section	".note.GNU-stack","",@progbits
	.addrsig
	.addrsig_sym __hip_cuid_d299926bfd239563
	.amdgpu_metadata
---
amdhsa.kernels:
  - .args:
      - .actual_access:  read_only
        .address_space:  global
        .offset:         0
        .size:           8
        .value_kind:     global_buffer
      - .actual_access:  read_only
        .address_space:  global
        .offset:         8
        .size:           8
        .value_kind:     global_buffer
      - .actual_access:  read_only
        .address_space:  global
        .offset:         16
        .size:           8
        .value_kind:     global_buffer
      - .actual_access:  read_only
        .address_space:  global
        .offset:         24
        .size:           8
        .value_kind:     global_buffer
      - .actual_access:  read_only
        .address_space:  global
        .offset:         32
        .size:           8
        .value_kind:     global_buffer
      - .offset:         40
        .size:           8
        .value_kind:     by_value
      - .address_space:  global
        .offset:         48
        .size:           8
        .value_kind:     global_buffer
      - .address_space:  global
        .offset:         56
        .size:           8
        .value_kind:     global_buffer
      - .address_space:  global
        .offset:         64
        .size:           8
        .value_kind:     global_buffer
      - .address_space:  global
        .offset:         72
        .size:           8
        .value_kind:     global_buffer
      - .offset:         80
        .size:           4
        .value_kind:     by_value
      - .address_space:  global
        .offset:         88
        .size:           8
        .value_kind:     global_buffer
      - .address_space:  global
        .offset:         96
        .size:           8
        .value_kind:     global_buffer
    .group_segment_fixed_size: 25920
    .kernarg_segment_align: 8
    .kernarg_segment_size: 104
    .language:       OpenCL C
    .language_version:
      - 2
      - 0
    .max_flat_workgroup_size: 108
    .name:           bluestein_single_back_len3240_dim1_sp_op_CI_CI
    .private_segment_fixed_size: 576
    .sgpr_count:     22
    .sgpr_spill_count: 0
    .symbol:         bluestein_single_back_len3240_dim1_sp_op_CI_CI.kd
    .uniform_work_group_size: 1
    .uses_dynamic_stack: false
    .vgpr_count:     256
    .vgpr_spill_count: 143
    .wavefront_size: 32
    .workgroup_processor_mode: 1
amdhsa.target:   amdgcn-amd-amdhsa--gfx1100
amdhsa.version:
  - 1
  - 2
...

	.end_amdgpu_metadata
